;; amdgpu-corpus repo=ROCm/rocFFT kind=compiled arch=gfx906 opt=O3
	.text
	.amdgcn_target "amdgcn-amd-amdhsa--gfx906"
	.amdhsa_code_object_version 6
	.protected	bluestein_single_fwd_len1764_dim1_half_op_CI_CI ; -- Begin function bluestein_single_fwd_len1764_dim1_half_op_CI_CI
	.globl	bluestein_single_fwd_len1764_dim1_half_op_CI_CI
	.p2align	8
	.type	bluestein_single_fwd_len1764_dim1_half_op_CI_CI,@function
bluestein_single_fwd_len1764_dim1_half_op_CI_CI: ; @bluestein_single_fwd_len1764_dim1_half_op_CI_CI
; %bb.0:
	s_load_dwordx4 s[16:19], s[4:5], 0x28
	v_mul_u32_u24_e32 v1, 0x209, v0
	v_add_u32_sdwa v16, s6, v1 dst_sel:DWORD dst_unused:UNUSED_PAD src0_sel:DWORD src1_sel:WORD_1
	v_mov_b32_e32 v17, 0
	s_waitcnt lgkmcnt(0)
	v_cmp_gt_u64_e32 vcc, s[16:17], v[16:17]
	s_and_saveexec_b64 s[0:1], vcc
	s_cbranch_execz .LBB0_18
; %bb.1:
	s_load_dwordx4 s[8:11], s[4:5], 0x18
	s_load_dwordx4 s[12:15], s[4:5], 0x0
	s_movk_i32 s6, 0x7e
	v_mul_lo_u16_sdwa v1, v1, s6 dst_sel:DWORD dst_unused:UNUSED_PAD src0_sel:WORD_1 src1_sel:DWORD
	v_sub_u16_e32 v62, v0, v1
	s_waitcnt lgkmcnt(0)
	s_load_dwordx4 s[0:3], s[8:9], 0x0
	v_lshlrev_b32_e32 v64, 2, v62
	global_load_dword v63, v64, s[12:13]
	s_movk_i32 s7, 0x1000
	v_add_u32_e32 v23, 0xe00, v64
	s_waitcnt lgkmcnt(0)
	v_mad_u64_u32 v[0:1], s[8:9], s2, v16, 0
	v_mad_u64_u32 v[2:3], s[8:9], s0, v62, 0
	s_mul_i32 s16, s0, 0xfffff430
	v_add_u32_e32 v24, 0x200, v64
	v_mad_u64_u32 v[4:5], s[2:3], s3, v16, v[1:2]
	v_add_u32_e32 v25, 0x1200, v64
	v_add_u32_e32 v26, 0x600, v64
	v_mad_u64_u32 v[5:6], s[2:3], s1, v62, v[3:4]
	v_mov_b32_e32 v1, v4
	v_lshlrev_b64 v[0:1], 2, v[0:1]
	v_mov_b32_e32 v6, s19
	v_mov_b32_e32 v3, v5
	v_add_co_u32_e32 v4, vcc, s18, v0
	v_addc_co_u32_e32 v5, vcc, v6, v1, vcc
	v_lshlrev_b64 v[0:1], 2, v[2:3]
	s_mul_i32 s2, s1, 0xdc8
	v_add_co_u32_e32 v0, vcc, v4, v0
	v_addc_co_u32_e32 v1, vcc, v5, v1, vcc
	global_load_dword v6, v[0:1], off
	s_mul_hi_u32 s3, s0, 0xdc8
	s_add_i32 s2, s3, s2
	s_mul_i32 s3, s0, 0xdc8
	v_mov_b32_e32 v2, s2
	v_add_co_u32_e32 v0, vcc, s3, v0
	v_addc_co_u32_e32 v1, vcc, v1, v2, vcc
	global_load_dword v7, v[0:1], off
	global_load_dword v61, v64, s[12:13] offset:3528
	v_mov_b32_e32 v2, s13
	v_add_co_u32_e32 v3, vcc, s12, v64
	v_addc_co_u32_e32 v4, vcc, 0, v2, vcc
	v_add_co_u32_e32 v2, vcc, s7, v3
	s_mul_hi_u32 s7, s0, 0xfffff430
	s_mulk_i32 s1, 0xf430
	s_sub_i32 s0, s7, s0
	v_addc_co_u32_e32 v3, vcc, 0, v4, vcc
	s_add_i32 s0, s0, s1
	v_mov_b32_e32 v5, s0
	v_add_co_u32_e32 v0, vcc, s16, v0
	v_addc_co_u32_e32 v1, vcc, v1, v5, vcc
	s_load_dwordx4 s[8:11], s[10:11], 0x0
	global_load_dword v59, v64, s[12:13] offset:4032
	global_load_dword v60, v64, s[12:13] offset:504
	;; [unrolled: 1-line block ×7, first 2 shown]
	global_load_dword v11, v[0:1], off
	v_mov_b32_e32 v4, s2
	v_add_co_u32_e32 v0, vcc, s3, v0
	v_addc_co_u32_e32 v1, vcc, v1, v4, vcc
	v_mov_b32_e32 v9, s0
	v_add_co_u32_e32 v4, vcc, s16, v0
	global_load_dword v58, v[2:3], off offset:440
	v_addc_co_u32_e32 v5, vcc, v1, v9, vcc
	global_load_dword v9, v[0:1], off
	global_load_dword v13, v[4:5], off
	v_mov_b32_e32 v8, s2
	v_add_co_u32_e32 v0, vcc, s3, v4
	v_addc_co_u32_e32 v1, vcc, v5, v8, vcc
	global_load_dword v4, v[0:1], off
	v_mov_b32_e32 v10, s0
	v_add_co_u32_e32 v0, vcc, s16, v0
	v_addc_co_u32_e32 v1, vcc, v1, v10, vcc
	global_load_dword v5, v[0:1], off
	v_add_co_u32_e32 v0, vcc, s3, v0
	v_add_u32_e32 v27, 0x1600, v64
	v_add_u32_e32 v28, 0xa00, v64
	s_movk_i32 s1, 0x17a
	v_lshlrev_b32_e32 v38, 3, v62
	v_and_b32_e32 v31, 1, v62
	s_waitcnt vmcnt(15)
	v_lshrrev_b32_e32 v8, 16, v6
	v_mul_f16_sdwa v10, v63, v6 dst_sel:DWORD dst_unused:UNUSED_PAD src0_sel:WORD_1 src1_sel:DWORD
	v_mul_f16_sdwa v12, v63, v8 dst_sel:DWORD dst_unused:UNUSED_PAD src0_sel:WORD_1 src1_sel:DWORD
	v_fma_f16 v8, v63, v8, -v10
	v_fma_f16 v6, v63, v6, v12
	v_pack_b32_f16 v6, v6, v8
	v_mov_b32_e32 v8, s2
	v_addc_co_u32_e32 v1, vcc, v1, v8, vcc
	s_waitcnt vmcnt(14)
	v_lshrrev_b32_e32 v10, 16, v7
	s_waitcnt vmcnt(13)
	v_mul_f16_sdwa v12, v61, v10 dst_sel:DWORD dst_unused:UNUSED_PAD src0_sel:WORD_1 src1_sel:DWORD
	v_mul_f16_sdwa v14, v61, v7 dst_sel:DWORD dst_unused:UNUSED_PAD src0_sel:WORD_1 src1_sel:DWORD
	v_fma_f16 v7, v61, v7, v12
	global_load_dword v8, v[0:1], off
	global_load_dword v56, v[2:3], off offset:944
	v_mov_b32_e32 v12, s0
	v_add_co_u32_e32 v0, vcc, s16, v0
	v_addc_co_u32_e32 v1, vcc, v1, v12, vcc
	v_fma_f16 v10, v61, v10, -v14
	global_load_dword v14, v[0:1], off
	v_mov_b32_e32 v12, s2
	v_add_co_u32_e32 v0, vcc, s3, v0
	v_addc_co_u32_e32 v1, vcc, v1, v12, vcc
	global_load_dword v15, v[0:1], off
	global_load_dword v54, v[2:3], off offset:1448
	v_pack_b32_f16 v7, v7, v10
	v_mov_b32_e32 v10, s0
	v_add_co_u32_e32 v0, vcc, s16, v0
	v_addc_co_u32_e32 v1, vcc, v1, v10, vcc
	global_load_dword v10, v[0:1], off
	ds_write_b32 v64, v7 offset:3528
	v_mov_b32_e32 v7, s2
	v_add_co_u32_e32 v0, vcc, s3, v0
	v_addc_co_u32_e32 v1, vcc, v1, v7, vcc
	global_load_dword v7, v[0:1], off
	global_load_dword v51, v[2:3], off offset:1952
	v_mov_b32_e32 v12, s0
	v_add_co_u32_e32 v0, vcc, s16, v0
	v_addc_co_u32_e32 v1, vcc, v1, v12, vcc
	global_load_dword v17, v[0:1], off
	v_mov_b32_e32 v12, s2
	v_add_co_u32_e32 v0, vcc, s3, v0
	v_addc_co_u32_e32 v1, vcc, v1, v12, vcc
	global_load_dword v18, v[0:1], off
	global_load_dword v49, v[2:3], off offset:2456
	s_waitcnt vmcnt(16)
	v_lshrrev_b32_e32 v0, 16, v11
	v_mul_f16_sdwa v1, v60, v0 dst_sel:DWORD dst_unused:UNUSED_PAD src0_sel:WORD_1 src1_sel:DWORD
	v_mul_f16_sdwa v2, v60, v11 dst_sel:DWORD dst_unused:UNUSED_PAD src0_sel:WORD_1 src1_sel:DWORD
	v_fma_f16 v1, v60, v11, v1
	v_fma_f16 v0, v60, v0, -v2
	v_pack_b32_f16 v0, v1, v0
	ds_write2_b32 v64, v6, v0 offset1:126
	s_waitcnt vmcnt(14)
	v_lshrrev_b32_e32 v0, 16, v9
	v_mul_f16_sdwa v1, v59, v0 dst_sel:DWORD dst_unused:UNUSED_PAD src0_sel:WORD_1 src1_sel:DWORD
	v_mul_f16_sdwa v2, v59, v9 dst_sel:DWORD dst_unused:UNUSED_PAD src0_sel:WORD_1 src1_sel:DWORD
	v_fma_f16 v1, v59, v9, v1
	v_fma_f16 v0, v59, v0, -v2
	v_pack_b32_f16 v0, v1, v0
	s_waitcnt vmcnt(13)
	v_lshrrev_b32_e32 v1, 16, v13
	v_mul_f16_sdwa v2, v57, v1 dst_sel:DWORD dst_unused:UNUSED_PAD src0_sel:WORD_1 src1_sel:DWORD
	v_mul_f16_sdwa v3, v57, v13 dst_sel:DWORD dst_unused:UNUSED_PAD src0_sel:WORD_1 src1_sel:DWORD
	v_fma_f16 v2, v57, v13, v2
	v_fma_f16 v1, v57, v1, -v3
	v_pack_b32_f16 v1, v2, v1
	s_waitcnt vmcnt(12)
	v_lshrrev_b32_e32 v2, 16, v4
	v_mul_f16_sdwa v3, v58, v2 dst_sel:DWORD dst_unused:UNUSED_PAD src0_sel:WORD_1 src1_sel:DWORD
	v_fma_f16 v3, v58, v4, v3
	v_mul_f16_sdwa v4, v58, v4 dst_sel:DWORD dst_unused:UNUSED_PAD src0_sel:WORD_1 src1_sel:DWORD
	v_fma_f16 v2, v58, v2, -v4
	v_pack_b32_f16 v2, v3, v2
	ds_write2_b32 v23, v0, v2 offset0:112 offset1:238
	s_waitcnt vmcnt(11)
	v_lshrrev_b32_e32 v0, 16, v5
	v_mul_f16_sdwa v2, v55, v0 dst_sel:DWORD dst_unused:UNUSED_PAD src0_sel:WORD_1 src1_sel:DWORD
	v_mul_f16_sdwa v3, v55, v5 dst_sel:DWORD dst_unused:UNUSED_PAD src0_sel:WORD_1 src1_sel:DWORD
	v_fma_f16 v2, v55, v5, v2
	v_fma_f16 v0, v55, v0, -v3
	v_pack_b32_f16 v0, v2, v0
	ds_write2_b32 v24, v1, v0 offset0:124 offset1:250
	s_movk_i32 s0, 0xfc
	v_add_co_u32_e32 v12, vcc, s6, v62
	v_lshlrev_b32_e32 v42, 3, v12
	s_load_dwordx2 s[2:3], s[4:5], 0x38
	s_waitcnt vmcnt(10)
	v_lshrrev_b32_e32 v0, 16, v8
	s_waitcnt vmcnt(9)
	v_mul_f16_sdwa v1, v56, v0 dst_sel:DWORD dst_unused:UNUSED_PAD src0_sel:WORD_1 src1_sel:DWORD
	v_mul_f16_sdwa v2, v56, v8 dst_sel:DWORD dst_unused:UNUSED_PAD src0_sel:WORD_1 src1_sel:DWORD
	v_fma_f16 v1, v56, v8, v1
	v_fma_f16 v0, v56, v0, -v2
	v_pack_b32_f16 v0, v1, v0
	s_waitcnt vmcnt(8)
	v_lshrrev_b32_e32 v1, 16, v14
	v_mul_f16_sdwa v2, v53, v1 dst_sel:DWORD dst_unused:UNUSED_PAD src0_sel:WORD_1 src1_sel:DWORD
	v_mul_f16_sdwa v3, v53, v14 dst_sel:DWORD dst_unused:UNUSED_PAD src0_sel:WORD_1 src1_sel:DWORD
	v_fma_f16 v2, v53, v14, v2
	v_fma_f16 v1, v53, v1, -v3
	v_pack_b32_f16 v1, v2, v1
	s_waitcnt vmcnt(7)
	v_lshrrev_b32_e32 v2, 16, v15
	s_waitcnt vmcnt(6)
	v_mul_f16_sdwa v3, v54, v2 dst_sel:DWORD dst_unused:UNUSED_PAD src0_sel:WORD_1 src1_sel:DWORD
	v_mul_f16_sdwa v4, v54, v15 dst_sel:DWORD dst_unused:UNUSED_PAD src0_sel:WORD_1 src1_sel:DWORD
	v_fma_f16 v3, v54, v15, v3
	v_fma_f16 v2, v54, v2, -v4
	v_pack_b32_f16 v2, v3, v2
	ds_write2_b32 v25, v0, v2 offset0:108 offset1:234
	s_waitcnt vmcnt(5)
	v_lshrrev_b32_e32 v0, 16, v10
	v_mul_f16_sdwa v2, v52, v0 dst_sel:DWORD dst_unused:UNUSED_PAD src0_sel:WORD_1 src1_sel:DWORD
	v_mul_f16_sdwa v3, v52, v10 dst_sel:DWORD dst_unused:UNUSED_PAD src0_sel:WORD_1 src1_sel:DWORD
	v_fma_f16 v2, v52, v10, v2
	v_fma_f16 v0, v52, v0, -v3
	v_pack_b32_f16 v0, v2, v0
	ds_write2_b32 v26, v1, v0 offset0:120 offset1:246
	s_waitcnt vmcnt(4)
	v_lshrrev_b32_e32 v0, 16, v7
	s_waitcnt vmcnt(3)
	v_mul_f16_sdwa v1, v51, v0 dst_sel:DWORD dst_unused:UNUSED_PAD src0_sel:WORD_1 src1_sel:DWORD
	v_mul_f16_sdwa v2, v51, v7 dst_sel:DWORD dst_unused:UNUSED_PAD src0_sel:WORD_1 src1_sel:DWORD
	v_fma_f16 v1, v51, v7, v1
	v_fma_f16 v0, v51, v0, -v2
	v_pack_b32_f16 v0, v1, v0
	s_waitcnt vmcnt(2)
	v_lshrrev_b32_e32 v1, 16, v17
	v_mul_f16_sdwa v2, v50, v1 dst_sel:DWORD dst_unused:UNUSED_PAD src0_sel:WORD_1 src1_sel:DWORD
	v_mul_f16_sdwa v3, v50, v17 dst_sel:DWORD dst_unused:UNUSED_PAD src0_sel:WORD_1 src1_sel:DWORD
	v_fma_f16 v2, v50, v17, v2
	v_fma_f16 v1, v50, v1, -v3
	v_pack_b32_f16 v1, v2, v1
	ds_write_b32 v64, v1 offset:3024
	s_waitcnt vmcnt(1)
	v_lshrrev_b32_e32 v1, 16, v18
	s_waitcnt vmcnt(0)
	v_mul_f16_sdwa v2, v49, v1 dst_sel:DWORD dst_unused:UNUSED_PAD src0_sel:WORD_1 src1_sel:DWORD
	v_mul_f16_sdwa v3, v49, v18 dst_sel:DWORD dst_unused:UNUSED_PAD src0_sel:WORD_1 src1_sel:DWORD
	v_fma_f16 v2, v49, v18, v2
	v_fma_f16 v1, v49, v1, -v3
	v_pack_b32_f16 v1, v2, v1
	ds_write2_b32 v27, v0, v1 offset0:104 offset1:230
	s_waitcnt lgkmcnt(0)
	s_barrier
	ds_read2_b32 v[0:1], v64 offset1:126
	ds_read2_b32 v[2:3], v28 offset0:116 offset1:242
	ds_read2_b32 v[4:5], v23 offset0:112 offset1:238
	;; [unrolled: 1-line block ×5, first 2 shown]
	s_waitcnt lgkmcnt(4)
	v_pk_add_f16 v7, v0, v3 neg_lo:[0,1] neg_hi:[0,1]
	s_waitcnt lgkmcnt(3)
	v_pk_add_f16 v4, v1, v4 neg_lo:[0,1] neg_hi:[0,1]
	v_pk_fma_f16 v6, v0, 2.0, v7 op_sel_hi:[1,0,1] neg_lo:[0,0,1] neg_hi:[0,0,1]
	v_pk_fma_f16 v3, v1, 2.0, v4 op_sel_hi:[1,0,1] neg_lo:[0,0,1] neg_hi:[0,0,1]
	ds_read2_b32 v[0:1], v25 offset0:108 offset1:234
	s_waitcnt lgkmcnt(3)
	v_pk_add_f16 v11, v8, v5 neg_lo:[0,1] neg_hi:[0,1]
	v_add_co_u32_e32 v14, vcc, s0, v62
	v_pk_fma_f16 v10, v8, 2.0, v11 op_sel_hi:[1,0,1] neg_lo:[0,0,1] neg_hi:[0,0,1]
	s_waitcnt lgkmcnt(0)
	v_pk_add_f16 v22, v9, v0 neg_lo:[0,1] neg_hi:[0,1]
	v_pk_fma_f16 v21, v9, 2.0, v22 op_sel_hi:[1,0,1] neg_lo:[0,0,1] neg_hi:[0,0,1]
	v_pk_add_f16 v9, v18, v19 neg_lo:[0,1] neg_hi:[0,1]
	v_pk_add_f16 v1, v17, v1 neg_lo:[0,1] neg_hi:[0,1]
	v_pk_fma_f16 v8, v18, 2.0, v9 op_sel_hi:[1,0,1] neg_lo:[0,0,1] neg_hi:[0,0,1]
	v_add_co_u32_e32 v15, vcc, s1, v62
	s_movk_i32 s1, 0x1f8
	v_pk_add_f16 v18, v2, v20 neg_lo:[0,1] neg_hi:[0,1]
	v_lshlrev_b32_e32 v20, 1, v62
	v_pk_fma_f16 v0, v17, 2.0, v1 op_sel_hi:[1,0,1] neg_lo:[0,0,1] neg_hi:[0,0,1]
	v_add_co_u32_e32 v13, vcc, s1, v62
	v_pk_fma_f16 v17, v2, 2.0, v18 op_sel_hi:[1,0,1] neg_lo:[0,0,1] neg_hi:[0,0,1]
	v_lshlrev_b32_e32 v40, 3, v14
	v_lshlrev_b32_e32 v41, 3, v15
	;; [unrolled: 1-line block ×3, first 2 shown]
	s_barrier
	ds_write_b64 v38, v[6:7]
	ds_write_b64 v42, v[3:4]
	v_lshlrev_b32_e32 v39, 3, v13
	ds_write_b64 v40, v[10:11]
	ds_write_b64 v41, v[21:22]
	;; [unrolled: 1-line block ×3, first 2 shown]
	v_add_u32_e32 v0, 0x1000, v2
	ds_write2_b64 v0, v[8:9], v[17:18] offset0:118 offset1:244
	v_lshlrev_b32_e32 v0, 2, v31
	s_waitcnt lgkmcnt(0)
	s_barrier
	global_load_dword v37, v0, s[14:15]
	ds_read2_b32 v[0:1], v64 offset1:126
	ds_read2_b32 v[2:3], v28 offset0:116 offset1:242
	ds_read2_b32 v[4:5], v23 offset0:112 offset1:238
	v_and_or_b32 v19, v20, s0, v31
	v_lshlrev_b32_e32 v43, 2, v19
	s_waitcnt lgkmcnt(2)
	v_lshrrev_b32_e32 v6, 16, v0
	s_waitcnt lgkmcnt(1)
	v_lshrrev_b32_e32 v7, 16, v3
	s_movk_i32 s0, 0x1fc
	s_movk_i32 s1, 0x5fc
	v_add_u32_e32 v29, 0x4ec, v20
	v_add_u32_e32 v30, 0x5e8, v20
                                        ; implicit-def: $vgpr23
	s_waitcnt vmcnt(0)
	v_mul_f16_sdwa v8, v7, v37 dst_sel:DWORD dst_unused:UNUSED_PAD src0_sel:DWORD src1_sel:WORD_1
	v_fma_f16 v8, v3, v37, -v8
	v_mul_f16_sdwa v3, v3, v37 dst_sel:DWORD dst_unused:UNUSED_PAD src0_sel:DWORD src1_sel:WORD_1
	v_fma_f16 v3, v7, v37, v3
	v_sub_f16_e32 v7, v0, v8
	v_sub_f16_e32 v3, v6, v3
	v_fma_f16 v0, v0, 2.0, -v7
	v_fma_f16 v6, v6, 2.0, -v3
	v_pack_b32_f16 v0, v0, v6
	v_pack_b32_f16 v3, v7, v3
	ds_read2_b32 v[6:7], v24 offset0:124 offset1:250
	ds_read2_b32 v[8:9], v26 offset0:120 offset1:246
	ds_read2_b32 v[10:11], v25 offset0:108 offset1:234
	ds_read2_b32 v[17:18], v27 offset0:104 offset1:230
	s_waitcnt lgkmcnt(0)
	s_barrier
	ds_write2_b32 v43, v0, v3 offset1:2
	v_lshrrev_b32_e32 v0, 16, v4
	v_mul_f16_sdwa v3, v4, v37 dst_sel:DWORD dst_unused:UNUSED_PAD src0_sel:DWORD src1_sel:WORD_1
	v_fma_f16 v3, v0, v37, v3
	v_mul_f16_sdwa v0, v0, v37 dst_sel:DWORD dst_unused:UNUSED_PAD src0_sel:DWORD src1_sel:WORD_1
	v_fma_f16 v0, v4, v37, -v0
	v_lshrrev_b32_e32 v4, 16, v1
	v_sub_f16_e32 v0, v1, v0
	v_sub_f16_e32 v3, v4, v3
	v_fma_f16 v1, v1, 2.0, -v0
	v_fma_f16 v4, v4, 2.0, -v3
	v_pack_b32_f16 v0, v0, v3
	v_lshlrev_b32_e32 v3, 1, v12
	v_and_or_b32 v3, v3, s0, v31
	v_pack_b32_f16 v1, v1, v4
	v_lshlrev_b32_e32 v44, 2, v3
	ds_write2_b32 v44, v1, v0 offset1:2
	v_lshrrev_b32_e32 v0, 16, v5
	v_mul_f16_sdwa v1, v0, v37 dst_sel:DWORD dst_unused:UNUSED_PAD src0_sel:DWORD src1_sel:WORD_1
	v_mul_f16_sdwa v3, v5, v37 dst_sel:DWORD dst_unused:UNUSED_PAD src0_sel:DWORD src1_sel:WORD_1
	v_fma_f16 v1, v5, v37, -v1
	v_fma_f16 v0, v0, v37, v3
	v_lshrrev_b32_e32 v3, 16, v6
	v_sub_f16_e32 v1, v6, v1
	v_sub_f16_e32 v0, v3, v0
	v_fma_f16 v3, v3, 2.0, -v0
	v_fma_f16 v4, v6, 2.0, -v1
	v_pack_b32_f16 v0, v1, v0
	s_movk_i32 s0, 0x3fc
	v_lshlrev_b32_e32 v1, 1, v14
	v_and_or_b32 v1, v1, s0, v31
	v_pack_b32_f16 v3, v4, v3
	v_lshlrev_b32_e32 v45, 2, v1
	ds_write2_b32 v45, v3, v0 offset1:2
	v_lshrrev_b32_e32 v0, 16, v10
	v_mul_f16_sdwa v1, v10, v37 dst_sel:DWORD dst_unused:UNUSED_PAD src0_sel:DWORD src1_sel:WORD_1
	v_fma_f16 v1, v0, v37, v1
	v_mul_f16_sdwa v0, v0, v37 dst_sel:DWORD dst_unused:UNUSED_PAD src0_sel:DWORD src1_sel:WORD_1
	v_fma_f16 v0, v10, v37, -v0
	v_lshrrev_b32_e32 v3, 16, v7
	v_sub_f16_e32 v0, v7, v0
	v_sub_f16_e32 v1, v3, v1
	v_fma_f16 v4, v7, 2.0, -v0
	v_fma_f16 v3, v3, 2.0, -v1
	v_pack_b32_f16 v0, v0, v1
	v_lshlrev_b32_e32 v1, 1, v15
	v_and_or_b32 v1, v1, s0, v31
	v_pack_b32_f16 v3, v4, v3
	v_lshlrev_b32_e32 v46, 2, v1
	ds_write2_b32 v46, v3, v0 offset1:2
	v_lshrrev_b32_e32 v0, 16, v11
	v_mul_f16_sdwa v1, v0, v37 dst_sel:DWORD dst_unused:UNUSED_PAD src0_sel:DWORD src1_sel:WORD_1
	v_mul_f16_sdwa v3, v11, v37 dst_sel:DWORD dst_unused:UNUSED_PAD src0_sel:DWORD src1_sel:WORD_1
	v_fma_f16 v1, v11, v37, -v1
	v_fma_f16 v0, v0, v37, v3
	v_lshrrev_b32_e32 v3, 16, v8
	v_sub_f16_e32 v1, v8, v1
	v_sub_f16_e32 v0, v3, v0
	v_fma_f16 v3, v3, 2.0, -v0
	v_fma_f16 v4, v8, 2.0, -v1
	v_pack_b32_f16 v0, v1, v0
	s_movk_i32 s0, 0x7fc
	v_lshlrev_b32_e32 v1, 1, v13
	v_and_or_b32 v1, v1, s0, v31
	v_pack_b32_f16 v3, v4, v3
	v_lshlrev_b32_e32 v47, 2, v1
	ds_write2_b32 v47, v3, v0 offset1:2
	v_lshrrev_b32_e32 v0, 16, v17
	v_mul_f16_sdwa v1, v17, v37 dst_sel:DWORD dst_unused:UNUSED_PAD src0_sel:DWORD src1_sel:WORD_1
	v_fma_f16 v1, v0, v37, v1
	v_mul_f16_sdwa v0, v0, v37 dst_sel:DWORD dst_unused:UNUSED_PAD src0_sel:DWORD src1_sel:WORD_1
	v_fma_f16 v0, v17, v37, -v0
	v_lshrrev_b32_e32 v3, 16, v9
	v_sub_f16_e32 v0, v9, v0
	v_sub_f16_e32 v1, v3, v1
	v_fma_f16 v4, v9, 2.0, -v0
	v_fma_f16 v3, v3, 2.0, -v1
	v_pack_b32_f16 v0, v0, v1
	v_and_or_b32 v1, v29, s1, v31
	v_pack_b32_f16 v3, v4, v3
	v_lshlrev_b32_e32 v48, 2, v1
	ds_write2_b32 v48, v3, v0 offset1:2
	v_lshrrev_b32_e32 v0, 16, v18
	v_mul_f16_sdwa v1, v0, v37 dst_sel:DWORD dst_unused:UNUSED_PAD src0_sel:DWORD src1_sel:WORD_1
	v_fma_f16 v1, v18, v37, -v1
	v_mul_f16_sdwa v3, v18, v37 dst_sel:DWORD dst_unused:UNUSED_PAD src0_sel:DWORD src1_sel:WORD_1
	v_fma_f16 v0, v0, v37, v3
	v_sub_f16_e32 v21, v2, v1
	v_lshrrev_b32_e32 v1, 16, v2
	v_sub_f16_e32 v22, v1, v0
	v_fma_f16 v19, v2, 2.0, -v21
	v_fma_f16 v20, v1, 2.0, -v22
	v_and_or_b32 v0, v30, s0, v31
	v_lshlrev_b32_e32 v66, 2, v0
	v_pack_b32_f16 v0, v19, v20
	v_pack_b32_f16 v1, v21, v22
	ds_write2_b32 v66, v0, v1 offset1:2
	v_add_u32_e32 v0, 0x800, v64
	v_add_u32_e32 v2, 0xc00, v64
	s_waitcnt lgkmcnt(0)
	s_barrier
	ds_read2_b32 v[10:11], v0 offset0:76 offset1:202
	ds_read2_b32 v[8:9], v25 offset0:24 offset1:150
	;; [unrolled: 1-line block ×5, first 2 shown]
	ds_read2_b32 v[2:3], v64 offset1:126
	s_movk_i32 s0, 0x54
	v_cmp_gt_u16_e32 vcc, s0, v62
                                        ; implicit-def: $vgpr24
	s_and_saveexec_b64 s[0:1], vcc
	s_cbranch_execz .LBB0_3
; %bb.2:
	ds_read_b32 v19, v64 offset:2016
	ds_read_b32 v21, v64 offset:4368
	;; [unrolled: 1-line block ×3, first 2 shown]
	s_waitcnt lgkmcnt(2)
	v_lshrrev_b32_e32 v20, 16, v19
	s_waitcnt lgkmcnt(1)
	v_lshrrev_b32_e32 v22, 16, v21
	;; [unrolled: 2-line block ×3, first 2 shown]
.LBB0_3:
	s_or_b64 exec, exec, s[0:1]
	v_and_b32_e32 v65, 3, v62
	v_and_b32_e32 v25, 3, v15
	v_lshlrev_b32_e32 v17, 3, v65
	v_lshlrev_b32_e32 v26, 3, v25
	global_load_dwordx2 v[17:18], v17, s[14:15] offset:8
	s_nop 0
	global_load_dword v67, v26, s[14:15] offset:8
	global_load_dword v69, v26, s[14:15] offset:10
	;; [unrolled: 1-line block ×3, first 2 shown]
	global_load_ushort v70, v26, s[14:15] offset:14
	v_and_b32_e32 v26, 3, v12
	v_lshlrev_b32_e32 v27, 3, v26
	global_load_ushort v71, v27, s[14:15] offset:8
	s_waitcnt lgkmcnt(5)
	v_lshrrev_b32_e32 v28, 16, v10
	s_waitcnt lgkmcnt(4)
	v_lshrrev_b32_e32 v31, 16, v8
	;; [unrolled: 2-line block ×3, first 2 shown]
	v_lshrrev_b32_e32 v33, 16, v11
	v_lshrrev_b32_e32 v32, 16, v3
	;; [unrolled: 1-line block ×5, first 2 shown]
	s_movk_i32 s0, 0x3aee
	s_mov_b32 s1, 0xbaee
	v_lshrrev_b32_e32 v35, 16, v0
	v_lshrrev_b32_e32 v75, 16, v7
	;; [unrolled: 1-line block ×4, first 2 shown]
	s_waitcnt vmcnt(0)
	s_barrier
	v_mul_f16_sdwa v82, v11, v67 dst_sel:DWORD dst_unused:UNUSED_PAD src0_sel:DWORD src1_sel:WORD_1
	v_mul_f16_sdwa v81, v33, v67 dst_sel:DWORD dst_unused:UNUSED_PAD src0_sel:DWORD src1_sel:WORD_1
	;; [unrolled: 1-line block ×6, first 2 shown]
	v_fma_f16 v10, v10, v17, -v77
	v_fma_f16 v28, v28, v17, v78
	v_lshrrev_b32_e32 v72, 16, v69
	v_mul_f16_sdwa v84, v9, v68 dst_sel:DWORD dst_unused:UNUSED_PAD src0_sel:DWORD src1_sel:WORD_1
	v_fma_f16 v8, v8, v18, -v79
	v_fma_f16 v31, v31, v18, v80
	v_fma_f16 v33, v33, v71, v82
	v_add_f16_e32 v77, v2, v10
	v_add_f16_e32 v80, v27, v28
	v_mul_f16_sdwa v83, v34, v68 dst_sel:DWORD dst_unused:UNUSED_PAD src0_sel:DWORD src1_sel:WORD_1
	v_fma_f16 v11, v11, v71, -v81
	v_fma_f16 v34, v34, v72, v84
	v_add_f16_e32 v78, v10, v8
	v_sub_f16_e32 v79, v28, v31
	v_add_f16_e32 v28, v28, v31
	v_sub_f16_e32 v10, v10, v8
	v_add_f16_e32 v8, v77, v8
	v_add_f16_e32 v77, v80, v31
	;; [unrolled: 1-line block ×3, first 2 shown]
	v_mul_f16_sdwa v85, v36, v17 dst_sel:DWORD dst_unused:UNUSED_PAD src0_sel:DWORD src1_sel:WORD_1
	v_fma_f16 v9, v9, v72, -v83
	v_add_f16_e32 v81, v3, v11
	v_add_f16_e32 v80, v31, v34
	;; [unrolled: 1-line block ×3, first 2 shown]
	v_mul_f16_sdwa v86, v6, v17 dst_sel:DWORD dst_unused:UNUSED_PAD src0_sel:DWORD src1_sel:WORD_1
	v_mul_f16_sdwa v87, v73, v18 dst_sel:DWORD dst_unused:UNUSED_PAD src0_sel:DWORD src1_sel:WORD_1
	v_fma_f16 v6, v6, v17, -v85
	v_add_f16_e32 v82, v11, v9
	v_fma_f16 v27, v28, -0.5, v27
	v_add_f16_e32 v28, v81, v9
	v_fma_f16 v31, v31, -0.5, v32
	v_sub_f16_e32 v9, v11, v9
	v_mul_f16_sdwa v88, v4, v18 dst_sel:DWORD dst_unused:UNUSED_PAD src0_sel:DWORD src1_sel:WORD_1
	v_fma_f16 v4, v4, v18, -v87
	v_fma_f16 v11, v9, s1, v31
	v_fma_f16 v9, v9, s0, v31
	v_add_f16_e32 v31, v0, v6
	v_fma_f16 v36, v36, v17, v86
	v_fma_f16 v73, v73, v18, v88
	v_add_f16_e32 v81, v31, v4
	v_add_f16_e32 v31, v6, v4
	v_fma_f16 v0, v31, -0.5, v0
	v_sub_f16_e32 v31, v36, v73
	v_sub_f16_e32 v83, v33, v34
	v_fma_f16 v2, v78, -0.5, v2
	v_fma_f16 v3, v82, -0.5, v3
	v_fma_f16 v82, v31, s0, v0
	v_fma_f16 v0, v31, s1, v0
	v_add_f16_e32 v31, v35, v36
	v_mul_f16_e32 v89, v75, v69
	v_fma_f16 v78, v79, s0, v2
	v_fma_f16 v2, v79, s1, v2
	;; [unrolled: 1-line block ×6, first 2 shown]
	v_add_f16_e32 v83, v31, v73
	v_add_f16_e32 v31, v36, v73
	v_mul_f16_e32 v90, v7, v69
	v_mul_f16_e32 v91, v76, v70
	v_fma_f16 v7, v7, v67, -v89
	v_fma_f16 v31, v31, -0.5, v35
	v_sub_f16_e32 v4, v6, v4
	v_mul_f16_e32 v92, v5, v70
	v_fma_f16 v5, v5, v68, -v91
	v_fma_f16 v6, v4, s1, v31
	v_fma_f16 v4, v4, s0, v31
	v_add_f16_e32 v31, v1, v7
	v_fma_f16 v75, v75, v67, v90
	v_fma_f16 v76, v76, v68, v92
	v_add_f16_e32 v84, v31, v5
	v_add_f16_e32 v31, v7, v5
	v_fma_f16 v1, v31, -0.5, v1
	v_sub_f16_e32 v31, v75, v76
	v_mul_f16_sdwa v93, v22, v17 dst_sel:DWORD dst_unused:UNUSED_PAD src0_sel:DWORD src1_sel:WORD_1
	v_mul_f16_sdwa v95, v24, v18 dst_sel:DWORD dst_unused:UNUSED_PAD src0_sel:DWORD src1_sel:WORD_1
	v_fma_f16 v85, v31, s0, v1
	v_fma_f16 v1, v31, s1, v1
	v_add_f16_e32 v31, v74, v75
	v_mul_f16_sdwa v94, v21, v17 dst_sel:DWORD dst_unused:UNUSED_PAD src0_sel:DWORD src1_sel:WORD_1
	v_mul_f16_sdwa v96, v23, v18 dst_sel:DWORD dst_unused:UNUSED_PAD src0_sel:DWORD src1_sel:WORD_1
	v_fma_f16 v21, v21, v17, -v93
	v_fma_f16 v23, v23, v18, -v95
	v_add_f16_e32 v86, v31, v76
	v_add_f16_e32 v31, v75, v76
	v_fma_f16 v22, v22, v17, v94
	v_fma_f16 v24, v24, v18, v96
	v_fma_f16 v31, v31, -0.5, v74
	v_sub_f16_e32 v5, v7, v5
	v_add_f16_e32 v32, v21, v23
	v_fma_f16 v7, v5, s1, v31
	v_fma_f16 v5, v5, s0, v31
	v_add_f16_e32 v31, v19, v21
	v_fma_f16 v19, v32, -0.5, v19
	v_sub_f16_e32 v32, v22, v24
	v_fma_f16 v33, v32, s0, v19
	v_fma_f16 v34, v32, s1, v19
	v_add_f16_e32 v19, v20, v22
	v_add_f16_e32 v32, v19, v24
	;; [unrolled: 1-line block ×3, first 2 shown]
	v_fma_f16 v19, v19, -0.5, v20
	v_sub_f16_e32 v20, v21, v23
	v_fma_f16 v36, v20, s1, v19
	v_fma_f16 v35, v20, s0, v19
	v_lshrrev_b32_e32 v19, 2, v62
	v_mul_u32_u24_e32 v19, 12, v19
	v_or_b32_e32 v19, v19, v65
	v_lshlrev_b32_e32 v73, 2, v19
	v_pack_b32_f16 v2, v2, v10
	ds_write_b32 v73, v2 offset:32
	v_lshrrev_b32_e32 v2, 2, v12
	v_mul_u32_u24_e32 v2, 12, v2
	v_pack_b32_f16 v8, v8, v77
	v_pack_b32_f16 v19, v78, v79
	v_or_b32_e32 v2, v2, v26
	ds_write2_b32 v73, v8, v19 offset1:4
	v_lshlrev_b32_e32 v74, 2, v2
	v_pack_b32_f16 v2, v28, v80
	v_pack_b32_f16 v8, v27, v11
	ds_write2_b32 v74, v2, v8 offset1:4
	v_pack_b32_f16 v2, v3, v9
	ds_write_b32 v74, v2 offset:32
	v_lshrrev_b32_e32 v2, 2, v14
	v_mul_u32_u24_e32 v2, 12, v2
	v_or_b32_e32 v2, v2, v65
	v_lshlrev_b32_e32 v75, 2, v2
	v_pack_b32_f16 v0, v0, v4
	ds_write_b32 v75, v0 offset:32
	v_lshrrev_b32_e32 v0, 2, v15
	v_mul_u32_u24_e32 v0, 12, v0
	v_pack_b32_f16 v2, v81, v83
	v_pack_b32_f16 v3, v82, v6
	v_or_b32_e32 v0, v0, v25
	ds_write2_b32 v75, v2, v3 offset1:4
	v_lshlrev_b32_e32 v77, 2, v0
	v_pack_b32_f16 v0, v84, v86
	v_pack_b32_f16 v2, v85, v7
	v_add_f16_e32 v31, v31, v23
	ds_write2_b32 v77, v0, v2 offset1:4
	v_pack_b32_f16 v0, v1, v5
	v_lshrrev_b32_e32 v76, 2, v13
	ds_write_b32 v77, v0 offset:32
	s_and_saveexec_b64 s[0:1], vcc
	s_cbranch_execz .LBB0_5
; %bb.4:
	v_mul_u32_u24_e32 v0, 12, v76
	v_or_b32_e32 v0, v0, v65
	s_mov_b32 s4, 0x5040100
	v_lshlrev_b32_e32 v0, 2, v0
	v_perm_b32 v1, v32, v31, s4
	v_perm_b32 v2, v36, v33, s4
	ds_write2_b32 v0, v1, v2 offset1:4
	v_perm_b32 v1, v35, v34, s4
	ds_write_b32 v0, v1 offset:32
.LBB0_5:
	s_or_b64 exec, exec, s[0:1]
	v_add_u32_e32 v0, 0x800, v64
	s_waitcnt lgkmcnt(0)
	s_barrier
	ds_read2_b32 v[4:5], v0 offset0:76 offset1:202
	v_add_u32_e32 v0, 0x1200, v64
	ds_read2_b32 v[8:9], v0 offset0:24 offset1:150
	v_add_u32_e32 v0, 0x200, v64
	v_add_u32_e32 v6, 0xc00, v64
	;; [unrolled: 1-line block ×3, first 2 shown]
	ds_read2_b32 v[2:3], v64 offset1:126
	ds_read2_b32 v[0:1], v0 offset0:124 offset1:250
	ds_read2_b32 v[6:7], v6 offset0:72 offset1:198
	;; [unrolled: 1-line block ×3, first 2 shown]
	s_and_saveexec_b64 s[0:1], vcc
	s_cbranch_execz .LBB0_7
; %bb.6:
	ds_read_b32 v31, v64 offset:2016
	ds_read_b32 v33, v64 offset:4368
	;; [unrolled: 1-line block ×3, first 2 shown]
	s_waitcnt lgkmcnt(2)
	v_lshrrev_b32_e32 v32, 16, v31
	s_waitcnt lgkmcnt(1)
	v_lshrrev_b32_e32 v36, 16, v33
	;; [unrolled: 2-line block ×3, first 2 shown]
.LBB0_7:
	s_or_b64 exec, exec, s[0:1]
	s_movk_i32 s0, 0xab
	v_mul_lo_u16_sdwa v19, v62, s0 dst_sel:DWORD dst_unused:UNUSED_PAD src0_sel:BYTE_0 src1_sel:DWORD
	v_lshrrev_b16_e32 v78, 11, v19
	v_mul_lo_u16_e32 v19, 12, v78
	v_sub_u16_e32 v19, v62, v19
	v_and_b32_e32 v79, 0xff, v19
	v_mul_lo_u16_sdwa v19, v12, s0 dst_sel:DWORD dst_unused:UNUSED_PAD src0_sel:BYTE_0 src1_sel:DWORD
	v_lshrrev_b16_e32 v80, 11, v19
	v_mul_lo_u16_e32 v19, 12, v80
	v_sub_u16_e32 v19, v12, v19
	s_mov_b32 s4, 0xaaab
	v_and_b32_e32 v81, 0xff, v19
	v_mul_u32_u24_sdwa v19, v14, s4 dst_sel:DWORD dst_unused:UNUSED_PAD src0_sel:WORD_0 src1_sel:DWORD
	v_lshrrev_b32_e32 v82, 19, v19
	v_mul_lo_u16_e32 v19, 12, v82
	v_sub_u16_e32 v83, v14, v19
	v_lshlrev_b16_e32 v14, 3, v83
	v_add_co_u32_e64 v19, s[0:1], s14, v14
	v_mul_u32_u24_sdwa v14, v15, s4 dst_sel:DWORD dst_unused:UNUSED_PAD src0_sel:WORD_0 src1_sel:DWORD
	v_lshrrev_b32_e32 v89, 19, v14
	v_mul_lo_u16_e32 v14, 12, v89
	v_mov_b32_e32 v84, s15
	v_sub_u16_e32 v90, v15, v14
	v_addc_co_u32_e64 v20, s[0:1], 0, v84, s[0:1]
	v_lshlrev_b16_e32 v14, 3, v90
	v_add_co_u32_e64 v14, s[0:1], s14, v14
	v_lshlrev_b32_e32 v27, 3, v79
	v_lshlrev_b32_e32 v28, 3, v81
	v_addc_co_u32_e64 v15, s[0:1], 0, v84, s[0:1]
	global_load_dwordx2 v[25:26], v27, s[14:15] offset:40
	global_load_dwordx2 v[23:24], v28, s[14:15] offset:40
	global_load_dwordx2 v[21:22], v[19:20], off offset:40
	v_lshlrev_b32_e32 v88, 2, v29
	global_load_dwordx2 v[27:28], v[14:15], off offset:40
	v_mul_u32_u24_sdwa v14, v13, s4 dst_sel:DWORD dst_unused:UNUSED_PAD src0_sel:WORD_0 src1_sel:DWORD
	v_lshrrev_b32_e32 v15, 19, v14
	v_mul_lo_u16_e32 v14, 12, v15
	v_sub_u16_e32 v91, v13, v14
	v_lshlrev_b16_e32 v13, 3, v91
	v_add_co_u32_e64 v13, s[0:1], s14, v13
	v_addc_co_u32_e64 v14, s[0:1], 0, v84, s[0:1]
	global_load_dwordx2 v[19:20], v[13:14], off offset:40
	s_waitcnt lgkmcnt(5)
	v_lshrrev_b32_e32 v14, 16, v4
	v_lshrrev_b32_e32 v84, 16, v5
	s_waitcnt lgkmcnt(4)
	v_lshrrev_b32_e32 v29, 16, v8
	s_waitcnt lgkmcnt(1)
	;; [unrolled: 2-line block ×3, first 2 shown]
	v_lshrrev_b32_e32 v96, 16, v11
	v_lshrrev_b32_e32 v95, 16, v7
	;; [unrolled: 1-line block ×3, first 2 shown]
	s_movk_i32 s0, 0x3aee
	s_mov_b32 s1, 0xbaee
	v_lshrrev_b32_e32 v85, 16, v9
	v_lshlrev_b32_e32 v87, 2, v30
	v_lshrrev_b32_e32 v30, 16, v3
	v_lshrrev_b32_e32 v93, 16, v10
	;; [unrolled: 1-line block ×3, first 2 shown]
	v_mul_u32_u24_e32 v78, 36, v78
	v_add_lshl_u32 v79, v78, v79, 2
	s_waitcnt vmcnt(0)
	s_barrier
	v_lshrrev_b32_e32 v94, 16, v1
	v_mad_legacy_u16 v78, v15, 36, v91
	v_mul_f16_sdwa v97, v14, v25 dst_sel:DWORD dst_unused:UNUSED_PAD src0_sel:DWORD src1_sel:WORD_1
	v_mul_f16_sdwa v98, v4, v25 dst_sel:DWORD dst_unused:UNUSED_PAD src0_sel:DWORD src1_sel:WORD_1
	;; [unrolled: 1-line block ×6, first 2 shown]
	v_fma_f16 v97, v4, v25, -v97
	v_fma_f16 v14, v14, v25, v98
	v_fma_f16 v98, v5, v23, -v101
	v_mul_f16_sdwa v4, v96, v28 dst_sel:DWORD dst_unused:UNUSED_PAD src0_sel:DWORD src1_sel:WORD_1
	v_mul_f16_sdwa v100, v8, v26 dst_sel:DWORD dst_unused:UNUSED_PAD src0_sel:DWORD src1_sel:WORD_1
	;; [unrolled: 1-line block ×4, first 2 shown]
	v_fma_f16 v8, v8, v26, -v99
	v_mul_f16_sdwa v5, v33, v19 dst_sel:DWORD dst_unused:UNUSED_PAD src0_sel:DWORD src1_sel:WORD_1
	v_fma_f16 v99, v6, v21, -v105
	v_fma_f16 v101, v11, v28, -v4
	v_mul_f16_sdwa v4, v11, v28 dst_sel:DWORD dst_unused:UNUSED_PAD src0_sel:DWORD src1_sel:WORD_1
	v_fma_f16 v6, v36, v19, v5
	v_mul_f16_sdwa v5, v35, v20 dst_sel:DWORD dst_unused:UNUSED_PAD src0_sel:DWORD src1_sel:WORD_1
	v_mul_f16_sdwa v110, v7, v27 dst_sel:DWORD dst_unused:UNUSED_PAD src0_sel:DWORD src1_sel:WORD_1
	v_fma_f16 v29, v29, v26, v100
	v_fma_f16 v100, v7, v27, -v109
	v_fma_f16 v11, v96, v28, v4
	v_mul_f16_sdwa v4, v36, v19 dst_sel:DWORD dst_unused:UNUSED_PAD src0_sel:DWORD src1_sel:WORD_1
	v_fma_f16 v5, v34, v20, -v5
	v_mul_f16_sdwa v7, v34, v20 dst_sel:DWORD dst_unused:UNUSED_PAD src0_sel:DWORD src1_sel:WORD_1
	v_add_f16_e32 v34, v97, v8
	v_fma_f16 v4, v33, v19, -v4
	v_add_f16_e32 v33, v2, v97
	v_fma_f16 v2, v34, -0.5, v2
	v_sub_f16_e32 v34, v14, v29
	v_fma_f16 v7, v35, v20, v7
	v_fma_f16 v35, v34, s0, v2
	;; [unrolled: 1-line block ×3, first 2 shown]
	v_add_f16_e32 v2, v13, v14
	v_add_f16_e32 v36, v2, v29
	;; [unrolled: 1-line block ×3, first 2 shown]
	v_mul_f16_sdwa v103, v85, v24 dst_sel:DWORD dst_unused:UNUSED_PAD src0_sel:DWORD src1_sel:WORD_1
	v_add_f16_e32 v33, v33, v8
	v_fma_f16 v2, v2, -0.5, v13
	v_sub_f16_e32 v8, v97, v8
	v_mul_f16_sdwa v104, v9, v24 dst_sel:DWORD dst_unused:UNUSED_PAD src0_sel:DWORD src1_sel:WORD_1
	v_fma_f16 v9, v9, v24, -v103
	v_fma_f16 v13, v8, s1, v2
	v_fma_f16 v8, v8, s0, v2
	v_add_f16_e32 v2, v3, v98
	v_fma_f16 v84, v84, v23, v102
	v_fma_f16 v85, v85, v24, v104
	v_add_f16_e32 v14, v2, v9
	v_add_f16_e32 v2, v98, v9
	v_fma_f16 v2, v2, -0.5, v3
	v_sub_f16_e32 v3, v84, v85
	v_fma_f16 v29, v3, s0, v2
	v_fma_f16 v96, v3, s1, v2
	v_add_f16_e32 v2, v30, v84
	v_add_f16_e32 v97, v2, v85
	;; [unrolled: 1-line block ×3, first 2 shown]
	v_mul_f16_sdwa v107, v93, v22 dst_sel:DWORD dst_unused:UNUSED_PAD src0_sel:DWORD src1_sel:WORD_1
	v_fma_f16 v2, v2, -0.5, v30
	v_sub_f16_e32 v3, v98, v9
	v_mul_f16_sdwa v108, v10, v22 dst_sel:DWORD dst_unused:UNUSED_PAD src0_sel:DWORD src1_sel:WORD_1
	v_fma_f16 v10, v10, v22, -v107
	v_fma_f16 v9, v3, s1, v2
	v_fma_f16 v30, v3, s0, v2
	v_add_f16_e32 v2, v0, v99
	v_fma_f16 v92, v92, v21, v106
	v_fma_f16 v93, v93, v22, v108
	v_add_f16_e32 v84, v2, v10
	v_add_f16_e32 v2, v99, v10
	v_fma_f16 v0, v2, -0.5, v0
	v_sub_f16_e32 v2, v92, v93
	v_fma_f16 v98, v2, s0, v0
	v_fma_f16 v102, v2, s1, v0
	v_add_f16_e32 v0, v86, v92
	v_add_f16_e32 v103, v0, v93
	;; [unrolled: 1-line block ×3, first 2 shown]
	v_fma_f16 v0, v0, -0.5, v86
	v_sub_f16_e32 v2, v99, v10
	v_pack_b32_f16 v8, v34, v8
	v_fma_f16 v10, v2, s1, v0
	v_fma_f16 v92, v2, s0, v0
	v_add_f16_e32 v0, v1, v100
	ds_write_b32 v79, v8 offset:96
	v_mul_u32_u24_e32 v8, 36, v80
	v_fma_f16 v95, v95, v27, v110
	v_add_f16_e32 v93, v0, v101
	v_add_f16_e32 v0, v100, v101
	v_pack_b32_f16 v33, v33, v36
	v_pack_b32_f16 v13, v35, v13
	v_add_lshl_u32 v80, v8, v81, 2
	v_pack_b32_f16 v8, v14, v97
	v_pack_b32_f16 v9, v29, v9
	v_fma_f16 v0, v0, -0.5, v1
	v_sub_f16_e32 v1, v95, v11
	ds_write2_b32 v79, v33, v13 offset1:12
	ds_write2_b32 v80, v8, v9 offset1:12
	v_pack_b32_f16 v8, v96, v30
	v_fma_f16 v99, v1, s0, v0
	v_fma_f16 v104, v1, s1, v0
	v_add_f16_e32 v0, v94, v95
	ds_write_b32 v80, v8 offset:96
	v_mad_legacy_u16 v8, v82, 36, v83
	v_add_f16_e32 v105, v0, v11
	v_add_f16_e32 v0, v95, v11
	v_lshlrev_b32_e32 v81, 2, v8
	v_pack_b32_f16 v8, v84, v103
	v_pack_b32_f16 v9, v98, v10
	v_fma_f16 v0, v0, -0.5, v94
	v_sub_f16_e32 v1, v100, v101
	ds_write2_b32 v81, v8, v9 offset1:12
	v_pack_b32_f16 v8, v102, v92
	v_fma_f16 v11, v1, s1, v0
	v_fma_f16 v94, v1, s0, v0
	v_add_f16_e32 v0, v4, v5
	v_add_f16_e32 v2, v6, v7
	ds_write_b32 v81, v8 offset:96
	v_mad_legacy_u16 v8, v89, 36, v90
	v_fma_f16 v0, v0, -0.5, v31
	v_sub_f16_e32 v1, v6, v7
	v_fma_f16 v2, v2, -0.5, v32
	v_sub_f16_e32 v3, v4, v5
	v_lshlrev_b32_e32 v82, 2, v8
	v_pack_b32_f16 v8, v93, v105
	v_pack_b32_f16 v9, v99, v11
	v_fma_f16 v85, v1, s1, v0
	v_fma_f16 v86, v3, s0, v2
	ds_write2_b32 v82, v8, v9 offset1:12
	v_pack_b32_f16 v8, v104, v94
	ds_write_b32 v82, v8 offset:96
	s_and_saveexec_b64 s[0:1], vcc
	s_cbranch_execz .LBB0_9
; %bb.8:
	v_mul_f16_e32 v1, 0x3aee, v1
	v_mul_f16_e32 v3, 0x3aee, v3
	v_sub_f16_e32 v2, v2, v3
	v_add_f16_e32 v0, v1, v0
	v_add_f16_e32 v1, v32, v6
	;; [unrolled: 1-line block ×5, first 2 shown]
	v_lshlrev_b32_e32 v4, 2, v78
	v_pack_b32_f16 v1, v3, v1
	v_pack_b32_f16 v0, v0, v2
	s_mov_b32 s4, 0x5040100
	ds_write2_b32 v4, v1, v0 offset1:12
	v_perm_b32 v0, v86, v85, s4
	ds_write_b32 v4, v0 offset:96
.LBB0_9:
	s_or_b64 exec, exec, s[0:1]
	v_mov_b32_e32 v4, 57
	v_mul_lo_u16_sdwa v0, v62, v4 dst_sel:DWORD dst_unused:UNUSED_PAD src0_sel:BYTE_0 src1_sel:DWORD
	v_lshrrev_b16_e32 v95, 11, v0
	v_mul_lo_u16_sdwa v4, v12, v4 dst_sel:DWORD dst_unused:UNUSED_PAD src0_sel:BYTE_0 src1_sel:DWORD
	v_mul_lo_u16_e32 v0, 36, v95
	v_lshrrev_b16_e32 v97, 11, v4
	v_sub_u16_e32 v0, v62, v0
	v_mul_lo_u16_e32 v4, 36, v97
	v_and_b32_e32 v96, 0xff, v0
	v_sub_u16_e32 v4, v12, v4
	v_mad_u64_u32 v[8:9], s[0:1], v96, 24, s[14:15]
	v_and_b32_e32 v98, 0xff, v4
	v_mad_u64_u32 v[10:11], s[0:1], v98, 24, s[14:15]
	s_waitcnt lgkmcnt(0)
	s_barrier
	global_load_dwordx4 v[0:3], v[8:9], off offset:136
	global_load_dwordx2 v[31:32], v[8:9], off offset:152
	global_load_dwordx4 v[4:7], v[10:11], off offset:136
	global_load_dwordx2 v[29:30], v[10:11], off offset:152
	v_add_u32_e32 v89, 0x200, v64
	ds_read2_b32 v[8:9], v64 offset1:126
	v_add_u32_e32 v92, 0x600, v64
	v_add_u32_e32 v94, 0xa00, v64
	;; [unrolled: 1-line block ×5, first 2 shown]
	ds_read2_b32 v[10:11], v89 offset0:124 offset1:250
	ds_read2_b32 v[12:13], v92 offset0:120 offset1:246
	;; [unrolled: 1-line block ×6, first 2 shown]
	s_waitcnt lgkmcnt(5)
	v_lshrrev_b32_e32 v99, 16, v10
	s_waitcnt lgkmcnt(4)
	v_lshrrev_b32_e32 v100, 16, v12
	;; [unrolled: 2-line block ×5, first 2 shown]
	v_lshrrev_b32_e32 v110, 16, v84
	v_lshrrev_b32_e32 v102, 16, v33
	;; [unrolled: 1-line block ×5, first 2 shown]
	s_movk_i32 s5, 0x2b26
	s_movk_i32 s4, 0x3b00
	s_mov_b32 s6, 0xbcab
	s_movk_i32 s7, 0x39e0
	s_mov_b32 s17, 0xb9e0
	s_movk_i32 s18, 0x3574
	s_mov_b32 s19, 0xb574
	v_lshrrev_b32_e32 v107, 16, v15
	v_lshrrev_b32_e32 v108, 16, v34
	s_movk_i32 s16, 0x370e
	s_waitcnt vmcnt(0)
	s_barrier
	v_mul_f16_sdwa v119, v103, v31 dst_sel:DWORD dst_unused:UNUSED_PAD src0_sel:DWORD src1_sel:WORD_1
	v_mul_f16_sdwa v111, v99, v0 dst_sel:DWORD dst_unused:UNUSED_PAD src0_sel:DWORD src1_sel:WORD_1
	;; [unrolled: 1-line block ×13, first 2 shown]
	v_fma_f16 v10, v10, v0, -v111
	v_fma_f16 v99, v99, v0, v112
	v_fma_f16 v12, v12, v1, -v113
	v_fma_f16 v100, v100, v1, v114
	v_fma_f16 v35, v35, v31, -v119
	v_fma_f16 v103, v103, v31, v120
	v_fma_f16 v83, v83, v32, -v121
	v_fma_f16 v104, v104, v32, v122
	v_fma_f16 v111, v84, v30, -v133
	v_mul_f16_sdwa v84, v84, v30 dst_sel:DWORD dst_unused:UNUSED_PAD src0_sel:DWORD src1_sel:WORD_1
	v_fma_f16 v14, v14, v2, -v115
	v_fma_f16 v101, v101, v2, v116
	v_fma_f16 v33, v33, v3, -v117
	v_fma_f16 v102, v102, v3, v118
	v_fma_f16 v84, v110, v30, v84
	v_add_f16_e32 v110, v10, v83
	v_add_f16_e32 v112, v99, v104
	v_sub_f16_e32 v10, v10, v83
	v_sub_f16_e32 v83, v99, v104
	v_add_f16_e32 v99, v12, v35
	v_add_f16_e32 v104, v100, v103
	v_sub_f16_e32 v12, v12, v35
	v_sub_f16_e32 v35, v100, v103
	;; [unrolled: 4-line block ×4, first 2 shown]
	v_sub_f16_e32 v110, v110, v100
	v_sub_f16_e32 v112, v112, v103
	;; [unrolled: 1-line block ×4, first 2 shown]
	v_add_f16_e32 v115, v14, v12
	v_add_f16_e32 v116, v33, v35
	v_sub_f16_e32 v117, v14, v12
	v_sub_f16_e32 v118, v33, v35
	;; [unrolled: 1-line block ×4, first 2 shown]
	v_add_f16_e32 v100, v100, v101
	v_add_f16_e32 v101, v103, v102
	v_sub_f16_e32 v14, v10, v14
	v_sub_f16_e32 v33, v83, v33
	v_add_f16_e32 v10, v115, v10
	v_add_f16_e32 v83, v116, v83
	;; [unrolled: 1-line block ×3, first 2 shown]
	v_add_f16_sdwa v8, v8, v101 dst_sel:DWORD dst_unused:UNUSED_PAD src0_sel:WORD_1 src1_sel:DWORD
	v_mul_f16_e32 v103, 0x3a52, v110
	v_mul_f16_e32 v110, 0x3a52, v112
	;; [unrolled: 1-line block ×8, first 2 shown]
	v_mul_f16_sdwa v123, v105, v4 dst_sel:DWORD dst_unused:UNUSED_PAD src0_sel:DWORD src1_sel:WORD_1
	v_mul_f16_sdwa v125, v106, v5 dst_sel:DWORD dst_unused:UNUSED_PAD src0_sel:DWORD src1_sel:WORD_1
	;; [unrolled: 1-line block ×3, first 2 shown]
	v_fma_f16 v100, v100, s6, v102
	v_fma_f16 v101, v101, s6, v8
	;; [unrolled: 1-line block ×4, first 2 shown]
	v_fma_f16 v112, v113, s7, -v112
	v_fma_f16 v115, v114, s7, -v115
	;; [unrolled: 1-line block ×4, first 2 shown]
	v_fma_f16 v113, v14, s18, v116
	v_fma_f16 v114, v33, s18, v117
	v_fma_f16 v12, v12, s4, -v116
	v_fma_f16 v14, v14, s19, -v118
	;; [unrolled: 1-line block ×3, first 2 shown]
	v_mul_f16_sdwa v124, v11, v4 dst_sel:DWORD dst_unused:UNUSED_PAD src0_sel:DWORD src1_sel:WORD_1
	v_mul_f16_sdwa v126, v13, v5 dst_sel:DWORD dst_unused:UNUSED_PAD src0_sel:DWORD src1_sel:WORD_1
	;; [unrolled: 1-line block ×7, first 2 shown]
	v_fma_f16 v11, v11, v4, -v123
	v_fma_f16 v13, v13, v5, -v125
	;; [unrolled: 1-line block ×4, first 2 shown]
	v_add_f16_e32 v99, v99, v100
	v_add_f16_e32 v104, v104, v101
	;; [unrolled: 1-line block ×4, first 2 shown]
	v_fma_f16 v103, v10, s16, v113
	v_fma_f16 v12, v10, s16, v12
	;; [unrolled: 1-line block ×6, first 2 shown]
	v_fma_f16 v15, v15, v6, -v127
	v_fma_f16 v107, v107, v6, v128
	v_fma_f16 v34, v34, v7, -v129
	v_fma_f16 v108, v108, v7, v130
	v_fma_f16 v109, v109, v29, v132
	v_add_f16_e32 v115, v115, v101
	v_add_f16_e32 v101, v110, v101
	v_fma_f16 v110, v83, s16, v114
	v_fma_f16 v35, v83, s16, v35
	v_sub_f16_e32 v113, v104, v103
	v_add_f16_e32 v114, v14, v100
	v_sub_f16_e32 v14, v100, v14
	v_add_f16_e32 v100, v103, v104
	v_add_f16_e32 v83, v11, v111
	;; [unrolled: 1-line block ×3, first 2 shown]
	v_sub_f16_e32 v116, v101, v10
	v_add_f16_e32 v10, v10, v101
	v_add_f16_e32 v101, v105, v84
	v_sub_f16_e32 v11, v11, v111
	v_sub_f16_e32 v84, v105, v84
	v_add_f16_e32 v104, v106, v109
	v_sub_f16_e32 v13, v13, v36
	v_sub_f16_e32 v36, v106, v109
	v_add_f16_e32 v105, v15, v34
	v_add_f16_e32 v106, v107, v108
	v_sub_f16_e32 v15, v34, v15
	v_sub_f16_e32 v34, v108, v107
	v_add_f16_e32 v107, v103, v83
	v_add_f16_e32 v33, v110, v99
	v_sub_f16_e32 v117, v112, v35
	v_add_f16_e32 v118, v12, v115
	v_add_f16_e32 v35, v35, v112
	v_sub_f16_e32 v12, v115, v12
	v_sub_f16_e32 v99, v99, v110
	v_add_f16_e32 v108, v104, v101
	v_sub_f16_e32 v109, v103, v83
	v_sub_f16_e32 v110, v104, v101
	;; [unrolled: 1-line block ×6, first 2 shown]
	v_add_f16_e32 v111, v15, v13
	v_add_f16_e32 v112, v34, v36
	v_sub_f16_e32 v115, v15, v13
	v_sub_f16_e32 v119, v34, v36
	;; [unrolled: 1-line block ×4, first 2 shown]
	v_add_f16_e32 v105, v105, v107
	v_sub_f16_e32 v15, v11, v15
	v_sub_f16_e32 v34, v84, v34
	v_add_f16_e32 v106, v106, v108
	v_add_f16_e32 v11, v111, v11
	;; [unrolled: 1-line block ×4, first 2 shown]
	v_mul_f16_e32 v83, 0x3a52, v83
	v_mul_f16_e32 v101, 0x3a52, v101
	;; [unrolled: 1-line block ×8, first 2 shown]
	v_add_f16_sdwa v9, v9, v106 dst_sel:DWORD dst_unused:UNUSED_PAD src0_sel:WORD_1 src1_sel:DWORD
	v_fma_f16 v105, v105, s6, v107
	v_fma_f16 v103, v103, s5, v83
	;; [unrolled: 1-line block ×3, first 2 shown]
	v_fma_f16 v108, v109, s7, -v108
	v_fma_f16 v111, v110, s7, -v111
	;; [unrolled: 1-line block ×4, first 2 shown]
	v_fma_f16 v109, v15, s18, v112
	v_fma_f16 v110, v34, s18, v115
	v_fma_f16 v13, v13, s4, -v112
	v_fma_f16 v15, v15, s19, -v119
	;; [unrolled: 1-line block ×3, first 2 shown]
	v_fma_f16 v106, v106, s6, v9
	v_add_f16_e32 v103, v103, v105
	v_add_f16_e32 v108, v108, v105
	;; [unrolled: 1-line block ×3, first 2 shown]
	v_fma_f16 v105, v11, s16, v109
	v_fma_f16 v13, v11, s16, v13
	;; [unrolled: 1-line block ×4, first 2 shown]
	v_add_f16_e32 v104, v104, v106
	v_add_f16_e32 v111, v111, v106
	;; [unrolled: 1-line block ×3, first 2 shown]
	v_fma_f16 v106, v84, s16, v110
	v_add_f16_e32 v110, v15, v83
	v_sub_f16_e32 v15, v83, v15
	v_mul_u32_u24_e32 v83, 0xfc, v95
	v_add_lshl_u32 v83, v83, v96, 2
	v_pack_b32_f16 v8, v102, v8
	v_pack_b32_f16 v33, v33, v113
	ds_write2_b32 v83, v8, v33 offset1:36
	v_pack_b32_f16 v8, v114, v116
	v_pack_b32_f16 v33, v117, v118
	ds_write2_b32 v83, v8, v33 offset0:72 offset1:108
	v_pack_b32_f16 v8, v35, v12
	v_pack_b32_f16 v10, v14, v10
	v_fma_f16 v36, v36, s4, -v115
	ds_write2_b32 v83, v8, v10 offset0:144 offset1:180
	v_pack_b32_f16 v8, v99, v100
	v_fma_f16 v36, v84, s16, v36
	v_add_f16_e32 v34, v106, v103
	v_sub_f16_e32 v109, v104, v105
	ds_write_b32 v83, v8 offset:864
	v_mul_u32_u24_e32 v8, 0xfc, v97
	v_sub_f16_e32 v112, v101, v11
	v_sub_f16_e32 v115, v108, v36
	v_add_f16_e32 v119, v13, v111
	v_add_lshl_u32 v84, v8, v98, 2
	v_pack_b32_f16 v8, v107, v9
	v_pack_b32_f16 v9, v34, v109
	v_mad_u64_u32 v[95:96], s[0:1], v62, 24, s[14:15]
	v_add_f16_e32 v36, v36, v108
	v_sub_f16_e32 v13, v111, v13
	v_add_f16_e32 v11, v11, v101
	ds_write2_b32 v84, v8, v9 offset1:36
	v_pack_b32_f16 v8, v110, v112
	v_pack_b32_f16 v9, v115, v119
	v_sub_f16_e32 v101, v103, v106
	v_add_f16_e32 v103, v105, v104
	ds_write2_b32 v84, v8, v9 offset0:72 offset1:108
	v_pack_b32_f16 v8, v36, v13
	v_pack_b32_f16 v9, v15, v11
	ds_write2_b32 v84, v8, v9 offset0:144 offset1:180
	v_pack_b32_f16 v8, v101, v103
	ds_write_b32 v84, v8 offset:864
	s_waitcnt lgkmcnt(0)
	s_barrier
	global_load_dwordx4 v[8:11], v[95:96], off offset:1000
	global_load_dwordx2 v[33:34], v[95:96], off offset:1016
	global_load_dwordx4 v[12:15], v[95:96], off offset:4024
	global_load_dwordx2 v[35:36], v[95:96], off offset:4040
	ds_read2_b32 v[95:96], v89 offset0:124 offset1:250
	v_lshlrev_b32_e32 v97, 2, v62
	v_mov_b32_e32 v98, s13
	v_add_co_u32_e64 v109, s[0:1], s12, v97
	s_waitcnt lgkmcnt(0)
	v_lshrrev_b32_e32 v111, 16, v95
	v_addc_co_u32_e64 v110, s[0:1], 0, v98, s[0:1]
	ds_read2_b32 v[97:98], v64 offset1:126
	ds_read2_b32 v[99:100], v92 offset0:120 offset1:246
	ds_read2_b32 v[101:102], v94 offset0:116 offset1:242
	;; [unrolled: 1-line block ×5, first 2 shown]
	s_waitcnt lgkmcnt(4)
	v_lshrrev_b32_e32 v112, 16, v99
	s_waitcnt lgkmcnt(3)
	v_lshrrev_b32_e32 v113, 16, v101
	;; [unrolled: 2-line block ×5, first 2 shown]
	v_lshrrev_b32_e32 v117, 16, v96
	v_lshrrev_b32_e32 v118, 16, v100
	;; [unrolled: 1-line block ×6, first 2 shown]
	s_movk_i32 s0, 0x1000
	s_waitcnt vmcnt(3)
	v_mul_f16_sdwa v123, v111, v8 dst_sel:DWORD dst_unused:UNUSED_PAD src0_sel:DWORD src1_sel:WORD_1
	v_fma_f16 v123, v95, v8, -v123
	v_mul_f16_sdwa v95, v95, v8 dst_sel:DWORD dst_unused:UNUSED_PAD src0_sel:DWORD src1_sel:WORD_1
	v_fma_f16 v95, v111, v8, v95
	v_mul_f16_sdwa v111, v112, v9 dst_sel:DWORD dst_unused:UNUSED_PAD src0_sel:DWORD src1_sel:WORD_1
	v_fma_f16 v111, v99, v9, -v111
	v_mul_f16_sdwa v99, v99, v9 dst_sel:DWORD dst_unused:UNUSED_PAD src0_sel:DWORD src1_sel:WORD_1
	v_fma_f16 v99, v112, v9, v99
	;; [unrolled: 4-line block ×4, first 2 shown]
	s_waitcnt vmcnt(2)
	v_mul_f16_sdwa v114, v115, v33 dst_sel:DWORD dst_unused:UNUSED_PAD src0_sel:DWORD src1_sel:WORD_1
	v_fma_f16 v114, v105, v33, -v114
	v_mul_f16_sdwa v105, v105, v33 dst_sel:DWORD dst_unused:UNUSED_PAD src0_sel:DWORD src1_sel:WORD_1
	v_fma_f16 v105, v115, v33, v105
	v_mul_f16_sdwa v115, v116, v34 dst_sel:DWORD dst_unused:UNUSED_PAD src0_sel:DWORD src1_sel:WORD_1
	v_fma_f16 v115, v107, v34, -v115
	v_mul_f16_sdwa v107, v107, v34 dst_sel:DWORD dst_unused:UNUSED_PAD src0_sel:DWORD src1_sel:WORD_1
	v_fma_f16 v107, v116, v34, v107
	s_waitcnt vmcnt(1)
	v_mul_f16_sdwa v116, v117, v12 dst_sel:DWORD dst_unused:UNUSED_PAD src0_sel:DWORD src1_sel:WORD_1
	v_fma_f16 v116, v96, v12, -v116
	v_mul_f16_sdwa v96, v96, v12 dst_sel:DWORD dst_unused:UNUSED_PAD src0_sel:DWORD src1_sel:WORD_1
	v_fma_f16 v96, v117, v12, v96
	v_mul_f16_sdwa v117, v118, v13 dst_sel:DWORD dst_unused:UNUSED_PAD src0_sel:DWORD src1_sel:WORD_1
	v_fma_f16 v117, v100, v13, -v117
	v_mul_f16_sdwa v100, v100, v13 dst_sel:DWORD dst_unused:UNUSED_PAD src0_sel:DWORD src1_sel:WORD_1
	v_fma_f16 v100, v118, v13, v100
	;; [unrolled: 4-line block ×4, first 2 shown]
	s_waitcnt vmcnt(0)
	v_mul_f16_sdwa v120, v121, v35 dst_sel:DWORD dst_unused:UNUSED_PAD src0_sel:DWORD src1_sel:WORD_1
	v_fma_f16 v120, v106, v35, -v120
	v_mul_f16_sdwa v106, v106, v35 dst_sel:DWORD dst_unused:UNUSED_PAD src0_sel:DWORD src1_sel:WORD_1
	v_fma_f16 v106, v121, v35, v106
	v_mul_f16_sdwa v121, v122, v36 dst_sel:DWORD dst_unused:UNUSED_PAD src0_sel:DWORD src1_sel:WORD_1
	v_fma_f16 v121, v108, v36, -v121
	v_mul_f16_sdwa v108, v108, v36 dst_sel:DWORD dst_unused:UNUSED_PAD src0_sel:DWORD src1_sel:WORD_1
	v_fma_f16 v108, v122, v36, v108
	v_add_f16_e32 v122, v123, v115
	v_add_f16_e32 v124, v95, v107
	v_sub_f16_e32 v115, v123, v115
	v_sub_f16_e32 v95, v95, v107
	v_add_f16_e32 v107, v111, v114
	v_add_f16_e32 v123, v99, v105
	v_sub_f16_e32 v111, v111, v114
	v_sub_f16_e32 v99, v99, v105
	;; [unrolled: 4-line block ×4, first 2 shown]
	v_sub_f16_e32 v122, v122, v105
	v_sub_f16_e32 v124, v124, v114
	v_sub_f16_e32 v107, v105, v107
	v_sub_f16_e32 v123, v114, v123
	v_add_f16_e32 v127, v112, v111
	v_add_f16_e32 v128, v101, v99
	v_sub_f16_e32 v129, v112, v111
	v_sub_f16_e32 v130, v101, v99
	;; [unrolled: 1-line block ×4, first 2 shown]
	v_add_f16_e32 v103, v105, v103
	v_add_f16_e32 v105, v114, v113
	v_sub_f16_e32 v112, v115, v112
	v_sub_f16_e32 v101, v95, v101
	v_add_f16_e32 v113, v127, v115
	v_add_f16_e32 v95, v128, v95
	;; [unrolled: 1-line block ×3, first 2 shown]
	v_add_f16_sdwa v97, v97, v105 dst_sel:DWORD dst_unused:UNUSED_PAD src0_sel:WORD_1 src1_sel:DWORD
	v_mul_f16_e32 v115, 0x3a52, v122
	v_mul_f16_e32 v122, 0x3a52, v124
	;; [unrolled: 1-line block ×8, first 2 shown]
	v_fma_f16 v103, v103, s6, v114
	v_fma_f16 v105, v105, s6, v97
	v_fma_f16 v107, v107, s5, v115
	v_fma_f16 v123, v123, s5, v122
	v_fma_f16 v124, v125, s7, -v124
	v_fma_f16 v127, v126, s7, -v127
	;; [unrolled: 1-line block ×4, first 2 shown]
	v_fma_f16 v125, v112, s18, v128
	v_fma_f16 v126, v101, s18, v129
	v_fma_f16 v99, v99, s4, -v129
	v_fma_f16 v112, v112, s19, -v130
	;; [unrolled: 1-line block ×4, first 2 shown]
	v_add_f16_e32 v107, v107, v103
	v_add_f16_e32 v123, v123, v105
	;; [unrolled: 1-line block ×6, first 2 shown]
	v_fma_f16 v115, v113, s16, v125
	v_fma_f16 v122, v95, s16, v126
	;; [unrolled: 1-line block ×6, first 2 shown]
	v_add_f16_e32 v101, v122, v107
	v_sub_f16_e32 v113, v123, v115
	v_add_f16_e32 v125, v95, v103
	v_sub_f16_e32 v126, v105, v112
	v_sub_f16_e32 v95, v103, v95
	v_add_f16_e32 v103, v112, v105
	v_sub_f16_e32 v105, v107, v122
	v_add_f16_e32 v107, v115, v123
	v_add_f16_e32 v112, v116, v121
	;; [unrolled: 1-line block ×3, first 2 shown]
	v_sub_f16_e32 v116, v116, v121
	v_sub_f16_e32 v96, v96, v108
	v_add_f16_e32 v108, v117, v120
	v_add_f16_e32 v121, v100, v106
	v_sub_f16_e32 v117, v117, v120
	v_sub_f16_e32 v100, v100, v106
	v_add_f16_e32 v106, v118, v119
	v_add_f16_e32 v120, v102, v104
	;; [unrolled: 4-line block ×3, first 2 shown]
	v_sub_f16_e32 v128, v124, v99
	v_add_f16_e32 v129, v111, v127
	v_add_f16_e32 v99, v99, v124
	v_sub_f16_e32 v111, v127, v111
	v_sub_f16_e32 v122, v108, v112
	;; [unrolled: 1-line block ×7, first 2 shown]
	v_add_f16_e32 v124, v118, v117
	v_add_f16_e32 v127, v102, v100
	v_sub_f16_e32 v130, v118, v117
	v_sub_f16_e32 v131, v102, v100
	v_add_f16_e32 v104, v106, v104
	v_add_f16_e32 v106, v120, v119
	v_sub_f16_e32 v118, v116, v118
	v_sub_f16_e32 v102, v96, v102
	;; [unrolled: 1-line block ×4, first 2 shown]
	v_add_f16_e32 v116, v124, v116
	v_add_f16_e32 v96, v127, v96
	;; [unrolled: 1-line block ×3, first 2 shown]
	v_add_f16_sdwa v98, v98, v106 dst_sel:DWORD dst_unused:UNUSED_PAD src0_sel:WORD_1 src1_sel:DWORD
	v_mul_f16_e32 v112, 0x3a52, v112
	v_mul_f16_e32 v115, 0x3a52, v115
	v_mul_f16_e32 v120, 0x2b26, v108
	v_mul_f16_e32 v124, 0x2b26, v121
	v_mul_f16_e32 v127, 0xb846, v130
	v_mul_f16_e32 v130, 0xb846, v131
	v_mul_f16_e32 v131, 0x3b00, v117
	v_mul_f16_e32 v132, 0x3b00, v100
	v_fma_f16 v104, v104, s6, v119
	v_fma_f16 v106, v106, s6, v98
	;; [unrolled: 1-line block ×4, first 2 shown]
	v_fma_f16 v120, v122, s7, -v120
	v_fma_f16 v124, v123, s7, -v124
	;; [unrolled: 1-line block ×4, first 2 shown]
	v_fma_f16 v122, v118, s18, v127
	v_fma_f16 v123, v102, s18, v130
	v_pack_b32_f16 v101, v101, v113
	v_pack_b32_f16 v95, v95, v103
	v_fma_f16 v117, v117, s4, -v127
	v_fma_f16 v100, v100, s4, -v130
	;; [unrolled: 1-line block ×4, first 2 shown]
	v_add_f16_e32 v108, v108, v104
	v_add_f16_e32 v121, v121, v106
	v_add_f16_e32 v120, v120, v104
	v_add_f16_e32 v124, v124, v106
	v_add_f16_e32 v104, v112, v104
	v_add_f16_e32 v106, v115, v106
	v_fma_f16 v112, v116, s16, v122
	v_fma_f16 v115, v96, s16, v123
	ds_write_b32 v64, v101 offset:1008
	v_pack_b32_f16 v101, v125, v126
	ds_write_b32 v64, v95 offset:5040
	v_pack_b32_f16 v95, v105, v107
	v_fma_f16 v117, v116, s16, v117
	v_fma_f16 v100, v96, s16, v100
	;; [unrolled: 1-line block ×4, first 2 shown]
	v_add_f16_e32 v102, v115, v108
	v_sub_f16_e32 v118, v121, v112
	v_pack_b32_f16 v97, v114, v97
	ds_write_b32 v64, v101 offset:2016
	v_pack_b32_f16 v101, v128, v129
	v_pack_b32_f16 v99, v99, v111
	ds_write_b32 v64, v95 offset:6048
	v_pack_b32_f16 v95, v119, v98
	v_add_f16_e32 v122, v96, v104
	v_sub_f16_e32 v123, v106, v116
	ds_write_b32 v64, v101 offset:3024
	ds_write_b32 v64, v99 offset:4032
	ds_write2_b32 v64, v97, v95 offset1:126
	v_pack_b32_f16 v95, v102, v118
	v_sub_f16_e32 v127, v120, v100
	v_add_f16_e32 v130, v117, v124
	ds_write_b32 v64, v95 offset:1512
	v_pack_b32_f16 v95, v122, v123
	v_add_f16_e32 v100, v100, v120
	v_sub_f16_e32 v117, v124, v117
	ds_write_b32 v64, v95 offset:2520
	v_pack_b32_f16 v95, v127, v130
	v_sub_f16_e32 v96, v104, v96
	v_add_f16_e32 v104, v116, v106
	ds_write_b32 v64, v95 offset:3528
	v_pack_b32_f16 v95, v100, v117
	v_sub_f16_e32 v106, v108, v115
	v_add_f16_e32 v108, v112, v121
	ds_write_b32 v64, v95 offset:4536
	v_pack_b32_f16 v95, v96, v104
	ds_write_b32 v64, v95 offset:5544
	v_pack_b32_f16 v95, v106, v108
	ds_write_b32 v64, v95 offset:6552
	v_add_co_u32_e64 v95, s[0:1], s0, v109
	v_addc_co_u32_e64 v96, s[0:1], 0, v110, s[0:1]
	s_waitcnt lgkmcnt(0)
	s_barrier
	global_load_dword v101, v[95:96], off offset:2960
	s_movk_i32 s0, 0x1b90
	v_add_co_u32_e64 v95, s[0:1], s0, v109
	v_addc_co_u32_e64 v96, s[0:1], 0, v110, s[0:1]
	global_load_dword v103, v[95:96], off offset:3528
	global_load_dword v104, v[95:96], off offset:504
	;; [unrolled: 1-line block ×4, first 2 shown]
	s_movk_i32 s0, 0x2000
	v_add_co_u32_e64 v97, s[0:1], s0, v109
	v_addc_co_u32_e64 v98, s[0:1], 0, v110, s[0:1]
	global_load_dword v107, v[97:98], off offset:3400
	global_load_dword v108, v[95:96], off offset:1512
	;; [unrolled: 1-line block ×4, first 2 shown]
	s_movk_i32 s0, 0x3000
	v_add_co_u32_e64 v99, s[0:1], s0, v109
	v_addc_co_u32_e64 v100, s[0:1], 0, v110, s[0:1]
	global_load_dword v109, v[99:100], off offset:312
	ds_read2_b32 v[97:98], v64 offset1:126
	global_load_dword v110, v[95:96], off offset:2520
	global_load_dword v113, v[99:100], off offset:816
	s_waitcnt lgkmcnt(0)
	v_lshrrev_b32_e32 v102, 16, v97
	global_load_dword v99, v[99:100], off offset:1320
	s_waitcnt vmcnt(12)
	v_mul_f16_sdwa v114, v102, v101 dst_sel:DWORD dst_unused:UNUSED_PAD src0_sel:DWORD src1_sel:WORD_1
	global_load_dword v100, v[95:96], off offset:3024
	v_fma_f16 v114, v97, v101, -v114
	v_mul_f16_sdwa v97, v97, v101 dst_sel:DWORD dst_unused:UNUSED_PAD src0_sel:DWORD src1_sel:WORD_1
	v_fma_f16 v97, v102, v101, v97
	v_pack_b32_f16 v97, v114, v97
	ds_write_b32 v64, v97
	ds_read2_b32 v[101:102], v94 offset0:116 offset1:242
	s_waitcnt lgkmcnt(0)
	v_lshrrev_b32_e32 v97, 16, v102
	s_waitcnt vmcnt(12)
	v_mul_f16_sdwa v95, v97, v103 dst_sel:DWORD dst_unused:UNUSED_PAD src0_sel:DWORD src1_sel:WORD_1
	v_mul_f16_sdwa v96, v102, v103 dst_sel:DWORD dst_unused:UNUSED_PAD src0_sel:DWORD src1_sel:WORD_1
	v_fma_f16 v95, v102, v103, -v95
	v_fma_f16 v96, v97, v103, v96
	v_pack_b32_f16 v102, v95, v96
	ds_read2_b32 v[95:96], v93 offset0:112 offset1:238
	v_lshrrev_b32_e32 v97, 16, v98
	s_waitcnt vmcnt(11)
	v_mul_f16_sdwa v103, v97, v104 dst_sel:DWORD dst_unused:UNUSED_PAD src0_sel:DWORD src1_sel:WORD_1
	v_fma_f16 v103, v98, v104, -v103
	v_mul_f16_sdwa v98, v98, v104 dst_sel:DWORD dst_unused:UNUSED_PAD src0_sel:DWORD src1_sel:WORD_1
	v_fma_f16 v97, v97, v104, v98
	s_waitcnt lgkmcnt(0)
	v_lshrrev_b32_e32 v104, 16, v95
	v_pack_b32_f16 v103, v103, v97
	s_waitcnt vmcnt(10)
	v_mul_f16_sdwa v97, v104, v105 dst_sel:DWORD dst_unused:UNUSED_PAD src0_sel:DWORD src1_sel:WORD_1
	v_fma_f16 v114, v95, v105, -v97
	ds_read2_b32 v[97:98], v89 offset0:124 offset1:250
	v_mul_f16_sdwa v95, v95, v105 dst_sel:DWORD dst_unused:UNUSED_PAD src0_sel:DWORD src1_sel:WORD_1
	v_fma_f16 v95, v104, v105, v95
	v_pack_b32_f16 v95, v114, v95
	v_add_u32_e32 v114, 0xc00, v64
	ds_write2_b32 v114, v102, v95 offset0:114 offset1:240
	s_waitcnt lgkmcnt(1)
	v_lshrrev_b32_e32 v95, 16, v97
	s_waitcnt vmcnt(9)
	v_mul_f16_sdwa v102, v95, v106 dst_sel:DWORD dst_unused:UNUSED_PAD src0_sel:DWORD src1_sel:WORD_1
	v_fma_f16 v102, v97, v106, -v102
	v_mul_f16_sdwa v97, v97, v106 dst_sel:DWORD dst_unused:UNUSED_PAD src0_sel:DWORD src1_sel:WORD_1
	v_fma_f16 v95, v95, v106, v97
	v_pack_b32_f16 v95, v102, v95
	ds_write2_b32 v64, v103, v95 offset0:126 offset1:252
	v_lshrrev_b32_e32 v95, 16, v96
	s_waitcnt vmcnt(8)
	v_mul_f16_sdwa v97, v95, v107 dst_sel:DWORD dst_unused:UNUSED_PAD src0_sel:DWORD src1_sel:WORD_1
	v_fma_f16 v97, v96, v107, -v97
	v_mul_f16_sdwa v96, v96, v107 dst_sel:DWORD dst_unused:UNUSED_PAD src0_sel:DWORD src1_sel:WORD_1
	v_fma_f16 v95, v95, v107, v96
	v_pack_b32_f16 v102, v97, v95
	ds_read2_b32 v[95:96], v91 offset0:108 offset1:234
	v_lshrrev_b32_e32 v97, 16, v98
	s_waitcnt vmcnt(7)
	v_mul_f16_sdwa v103, v97, v108 dst_sel:DWORD dst_unused:UNUSED_PAD src0_sel:DWORD src1_sel:WORD_1
	v_fma_f16 v103, v98, v108, -v103
	v_mul_f16_sdwa v98, v98, v108 dst_sel:DWORD dst_unused:UNUSED_PAD src0_sel:DWORD src1_sel:WORD_1
	v_fma_f16 v97, v97, v108, v98
	s_waitcnt lgkmcnt(0)
	v_lshrrev_b32_e32 v104, 16, v95
	v_pack_b32_f16 v103, v103, v97
	s_waitcnt vmcnt(6)
	v_mul_f16_sdwa v97, v104, v111 dst_sel:DWORD dst_unused:UNUSED_PAD src0_sel:DWORD src1_sel:WORD_1
	v_fma_f16 v105, v95, v111, -v97
	ds_read2_b32 v[97:98], v92 offset0:120 offset1:246
	v_mul_f16_sdwa v95, v95, v111 dst_sel:DWORD dst_unused:UNUSED_PAD src0_sel:DWORD src1_sel:WORD_1
	v_fma_f16 v95, v104, v111, v95
	v_pack_b32_f16 v95, v105, v95
	v_add_u32_e32 v104, 0x1000, v64
	ds_write2_b32 v104, v102, v95 offset0:110 offset1:236
	s_waitcnt lgkmcnt(1)
	v_lshrrev_b32_e32 v95, 16, v97
	s_waitcnt vmcnt(5)
	v_mul_f16_sdwa v102, v95, v112 dst_sel:DWORD dst_unused:UNUSED_PAD src0_sel:DWORD src1_sel:WORD_1
	v_fma_f16 v102, v97, v112, -v102
	v_mul_f16_sdwa v97, v97, v112 dst_sel:DWORD dst_unused:UNUSED_PAD src0_sel:DWORD src1_sel:WORD_1
	v_fma_f16 v95, v95, v112, v97
	v_pack_b32_f16 v95, v102, v95
	v_add_u32_e32 v97, 0x400, v64
	ds_write2_b32 v97, v103, v95 offset0:122 offset1:248
	v_lshrrev_b32_e32 v95, 16, v96
	s_waitcnt vmcnt(4)
	v_mul_f16_sdwa v97, v95, v109 dst_sel:DWORD dst_unused:UNUSED_PAD src0_sel:DWORD src1_sel:WORD_1
	v_fma_f16 v97, v96, v109, -v97
	v_mul_f16_sdwa v96, v96, v109 dst_sel:DWORD dst_unused:UNUSED_PAD src0_sel:DWORD src1_sel:WORD_1
	v_fma_f16 v95, v95, v109, v96
	v_pack_b32_f16 v97, v97, v95
	ds_read2_b32 v[95:96], v90 offset0:104 offset1:230
	v_lshrrev_b32_e32 v102, 16, v98
	s_waitcnt vmcnt(3)
	v_mul_f16_sdwa v103, v102, v110 dst_sel:DWORD dst_unused:UNUSED_PAD src0_sel:DWORD src1_sel:WORD_1
	v_fma_f16 v103, v98, v110, -v103
	v_mul_f16_sdwa v98, v98, v110 dst_sel:DWORD dst_unused:UNUSED_PAD src0_sel:DWORD src1_sel:WORD_1
	v_fma_f16 v98, v102, v110, v98
	s_waitcnt lgkmcnt(0)
	v_lshrrev_b32_e32 v102, 16, v95
	v_pack_b32_f16 v98, v103, v98
	s_waitcnt vmcnt(2)
	v_mul_f16_sdwa v103, v102, v113 dst_sel:DWORD dst_unused:UNUSED_PAD src0_sel:DWORD src1_sel:WORD_1
	v_fma_f16 v103, v95, v113, -v103
	v_mul_f16_sdwa v95, v95, v113 dst_sel:DWORD dst_unused:UNUSED_PAD src0_sel:DWORD src1_sel:WORD_1
	v_fma_f16 v95, v102, v113, v95
	v_pack_b32_f16 v95, v103, v95
	v_add_u32_e32 v102, 0x1400, v64
	ds_write2_b32 v102, v97, v95 offset0:106 offset1:232
	v_lshrrev_b32_e32 v95, 16, v101
	s_waitcnt vmcnt(0)
	v_mul_f16_sdwa v97, v95, v100 dst_sel:DWORD dst_unused:UNUSED_PAD src0_sel:DWORD src1_sel:WORD_1
	v_fma_f16 v97, v101, v100, -v97
	v_mul_f16_sdwa v101, v101, v100 dst_sel:DWORD dst_unused:UNUSED_PAD src0_sel:DWORD src1_sel:WORD_1
	v_fma_f16 v95, v95, v100, v101
	v_pack_b32_f16 v95, v97, v95
	v_add_u32_e32 v113, 0x800, v64
	ds_write2_b32 v113, v98, v95 offset0:118 offset1:244
	v_lshrrev_b32_e32 v95, 16, v96
	v_mul_f16_sdwa v97, v95, v99 dst_sel:DWORD dst_unused:UNUSED_PAD src0_sel:DWORD src1_sel:WORD_1
	v_fma_f16 v97, v96, v99, -v97
	v_mul_f16_sdwa v96, v96, v99 dst_sel:DWORD dst_unused:UNUSED_PAD src0_sel:DWORD src1_sel:WORD_1
	v_fma_f16 v95, v95, v99, v96
	v_pack_b32_f16 v95, v97, v95
	ds_write_b32 v64, v95 offset:6552
	s_waitcnt lgkmcnt(0)
	s_barrier
	ds_read2_b32 v[95:96], v64 offset1:126
	ds_read2_b32 v[97:98], v94 offset0:116 offset1:242
	ds_read2_b32 v[99:100], v93 offset0:112 offset1:238
	;; [unrolled: 1-line block ×5, first 2 shown]
	s_waitcnt lgkmcnt(4)
	v_pk_add_f16 v102, v95, v98 neg_lo:[0,1] neg_hi:[0,1]
	s_waitcnt lgkmcnt(3)
	v_pk_add_f16 v99, v96, v99 neg_lo:[0,1] neg_hi:[0,1]
	v_pk_fma_f16 v101, v95, 2.0, v102 op_sel_hi:[1,0,1] neg_lo:[0,0,1] neg_hi:[0,0,1]
	v_pk_fma_f16 v98, v96, 2.0, v99 op_sel_hi:[1,0,1] neg_lo:[0,0,1] neg_hi:[0,0,1]
	ds_read2_b32 v[95:96], v91 offset0:108 offset1:234
	s_waitcnt lgkmcnt(3)
	v_pk_add_f16 v106, v103, v100 neg_lo:[0,1] neg_hi:[0,1]
	v_pk_fma_f16 v105, v103, 2.0, v106 op_sel_hi:[1,0,1] neg_lo:[0,0,1] neg_hi:[0,0,1]
	s_waitcnt lgkmcnt(0)
	s_barrier
	v_pk_add_f16 v112, v104, v95 neg_lo:[0,1] neg_hi:[0,1]
	v_pk_fma_f16 v111, v104, 2.0, v112 op_sel_hi:[1,0,1] neg_lo:[0,0,1] neg_hi:[0,0,1]
	v_pk_add_f16 v104, v108, v109 neg_lo:[0,1] neg_hi:[0,1]
	v_pk_add_f16 v96, v107, v96 neg_lo:[0,1] neg_hi:[0,1]
	v_pk_fma_f16 v103, v108, 2.0, v104 op_sel_hi:[1,0,1] neg_lo:[0,0,1] neg_hi:[0,0,1]
	v_pk_add_f16 v108, v97, v110 neg_lo:[0,1] neg_hi:[0,1]
	v_pk_fma_f16 v95, v107, 2.0, v96 op_sel_hi:[1,0,1] neg_lo:[0,0,1] neg_hi:[0,0,1]
	v_pk_fma_f16 v107, v97, 2.0, v108 op_sel_hi:[1,0,1] neg_lo:[0,0,1] neg_hi:[0,0,1]
	ds_write_b64 v38, v[101:102]
	ds_write_b64 v42, v[98:99]
	ds_write_b64 v40, v[105:106]
	ds_write_b64 v41, v[111:112]
	ds_write_b64 v39, v[95:96]
	ds_write_b64 v88, v[103:104]
	ds_write_b64 v87, v[107:108]
	s_waitcnt lgkmcnt(0)
	s_barrier
	ds_read2_b32 v[38:39], v64 offset1:126
	ds_read2_b32 v[40:41], v94 offset0:116 offset1:242
	ds_read2_b32 v[87:88], v93 offset0:112 offset1:238
	;; [unrolled: 1-line block ×6, first 2 shown]
	s_waitcnt lgkmcnt(5)
	v_lshrrev_b32_e32 v101, 16, v41
	v_mul_f16_sdwa v115, v37, v101 dst_sel:DWORD dst_unused:UNUSED_PAD src0_sel:WORD_1 src1_sel:DWORD
	s_waitcnt lgkmcnt(4)
	v_lshrrev_b32_e32 v103, 16, v87
	v_fma_f16 v115, v37, v41, v115
	v_mul_f16_sdwa v41, v37, v41 dst_sel:DWORD dst_unused:UNUSED_PAD src0_sel:WORD_1 src1_sel:DWORD
	v_fma_f16 v41, v37, v101, -v41
	v_mul_f16_sdwa v101, v37, v103 dst_sel:DWORD dst_unused:UNUSED_PAD src0_sel:WORD_1 src1_sel:DWORD
	v_lshrrev_b32_e32 v92, 16, v88
	v_fma_f16 v101, v37, v87, v101
	v_mul_f16_sdwa v87, v37, v87 dst_sel:DWORD dst_unused:UNUSED_PAD src0_sel:WORD_1 src1_sel:DWORD
	v_fma_f16 v87, v37, v103, -v87
	v_mul_f16_sdwa v103, v37, v92 dst_sel:DWORD dst_unused:UNUSED_PAD src0_sel:WORD_1 src1_sel:DWORD
	s_waitcnt lgkmcnt(2)
	v_lshrrev_b32_e32 v106, 16, v95
	v_fma_f16 v103, v37, v88, v103
	v_mul_f16_sdwa v88, v37, v88 dst_sel:DWORD dst_unused:UNUSED_PAD src0_sel:WORD_1 src1_sel:DWORD
	v_fma_f16 v88, v37, v92, -v88
	v_mul_f16_sdwa v92, v37, v106 dst_sel:DWORD dst_unused:UNUSED_PAD src0_sel:WORD_1 src1_sel:DWORD
	v_lshrrev_b32_e32 v108, 16, v96
	v_fma_f16 v92, v37, v95, v92
	v_mul_f16_sdwa v95, v37, v95 dst_sel:DWORD dst_unused:UNUSED_PAD src0_sel:WORD_1 src1_sel:DWORD
	v_fma_f16 v95, v37, v106, -v95
	;; [unrolled: 11-line block ×3, first 2 shown]
	v_mul_f16_sdwa v110, v37, v112 dst_sel:DWORD dst_unused:UNUSED_PAD src0_sel:WORD_1 src1_sel:DWORD
	v_lshrrev_b32_e32 v42, 16, v38
	v_fma_f16 v110, v37, v100, v110
	v_mul_f16_sdwa v100, v37, v100 dst_sel:DWORD dst_unused:UNUSED_PAD src0_sel:WORD_1 src1_sel:DWORD
	v_lshrrev_b32_e32 v102, 16, v39
	v_fma_f16 v37, v37, v112, -v100
	v_sub_f16_e32 v100, v38, v115
	v_sub_f16_e32 v41, v42, v41
	v_lshrrev_b32_e32 v104, 16, v93
	v_lshrrev_b32_e32 v111, 16, v40
	v_fma_f16 v38, v38, 2.0, -v100
	v_fma_f16 v42, v42, 2.0, -v41
	v_sub_f16_e32 v101, v39, v101
	v_sub_f16_e32 v112, v102, v87
	;; [unrolled: 1-line block ×3, first 2 shown]
	v_lshrrev_b32_e32 v105, 16, v94
	v_fma_f16 v39, v39, 2.0, -v101
	v_fma_f16 v102, v102, 2.0, -v112
	v_sub_f16_e32 v115, v104, v88
	v_fma_f16 v116, v93, 2.0, -v103
	v_sub_f16_e32 v93, v111, v37
	v_pack_b32_f16 v37, v38, v42
	v_pack_b32_f16 v38, v100, v41
	v_lshrrev_b32_e32 v107, 16, v97
	v_fma_f16 v104, v104, 2.0, -v115
	v_sub_f16_e32 v117, v94, v92
	v_sub_f16_e32 v95, v105, v95
	s_barrier
	ds_write2_b32 v43, v37, v38 offset1:2
	v_pack_b32_f16 v37, v39, v102
	v_pack_b32_f16 v38, v101, v112
	v_lshrrev_b32_e32 v109, 16, v98
	v_fma_f16 v94, v94, 2.0, -v117
	v_fma_f16 v105, v105, 2.0, -v95
	v_sub_f16_e32 v106, v97, v106
	v_sub_f16_e32 v96, v107, v96
	ds_write2_b32 v44, v37, v38 offset1:2
	v_pack_b32_f16 v37, v116, v104
	v_pack_b32_f16 v38, v103, v115
	v_fma_f16 v97, v97, 2.0, -v106
	v_fma_f16 v107, v107, 2.0, -v96
	v_sub_f16_e32 v108, v98, v108
	v_sub_f16_e32 v99, v109, v99
	ds_write2_b32 v45, v37, v38 offset1:2
	v_pack_b32_f16 v37, v94, v105
	v_pack_b32_f16 v38, v117, v95
	v_fma_f16 v98, v98, 2.0, -v108
	v_fma_f16 v109, v109, 2.0, -v99
	v_sub_f16_e32 v92, v40, v110
	ds_write2_b32 v46, v37, v38 offset1:2
	v_pack_b32_f16 v37, v97, v107
	v_pack_b32_f16 v38, v106, v96
	v_fma_f16 v87, v40, 2.0, -v92
	v_fma_f16 v88, v111, 2.0, -v93
	ds_write2_b32 v47, v37, v38 offset1:2
	v_pack_b32_f16 v37, v98, v109
	v_pack_b32_f16 v38, v108, v99
	ds_write2_b32 v48, v37, v38 offset1:2
	v_pack_b32_f16 v37, v87, v88
	v_pack_b32_f16 v38, v92, v93
	ds_write2_b32 v66, v37, v38 offset1:2
	s_waitcnt lgkmcnt(0)
	s_barrier
	ds_read2_b32 v[39:40], v64 offset1:126
	ds_read2_b32 v[47:48], v113 offset0:76 offset1:202
	ds_read2_b32 v[45:46], v91 offset0:24 offset1:150
	;; [unrolled: 1-line block ×5, first 2 shown]
	s_and_saveexec_b64 s[0:1], vcc
	s_cbranch_execz .LBB0_11
; %bb.10:
	ds_read_b32 v87, v64 offset:2016
	ds_read_b32 v92, v64 offset:4368
	;; [unrolled: 1-line block ×3, first 2 shown]
	s_waitcnt lgkmcnt(2)
	v_lshrrev_b32_e32 v88, 16, v87
	s_waitcnt lgkmcnt(1)
	v_lshrrev_b32_e32 v93, 16, v92
	s_waitcnt lgkmcnt(0)
	v_lshrrev_b32_e32 v86, 16, v85
.LBB0_11:
	s_or_b64 exec, exec, s[0:1]
	s_waitcnt lgkmcnt(4)
	v_lshrrev_b32_e32 v89, 16, v47
	v_mul_f16_sdwa v102, v17, v89 dst_sel:DWORD dst_unused:UNUSED_PAD src0_sel:WORD_1 src1_sel:DWORD
	s_waitcnt lgkmcnt(3)
	v_lshrrev_b32_e32 v90, 16, v45
	v_fma_f16 v102, v17, v47, v102
	v_mul_f16_sdwa v47, v17, v47 dst_sel:DWORD dst_unused:UNUSED_PAD src0_sel:WORD_1 src1_sel:DWORD
	v_fma_f16 v47, v17, v89, -v47
	v_mul_f16_sdwa v89, v18, v90 dst_sel:DWORD dst_unused:UNUSED_PAD src0_sel:WORD_1 src1_sel:DWORD
	v_lshrrev_b32_e32 v94, 16, v48
	v_fma_f16 v89, v18, v45, v89
	v_mul_f16_sdwa v45, v18, v45 dst_sel:DWORD dst_unused:UNUSED_PAD src0_sel:WORD_1 src1_sel:DWORD
	v_fma_f16 v45, v18, v90, -v45
	v_mul_f16_sdwa v90, v67, v94 dst_sel:DWORD dst_unused:UNUSED_PAD src0_sel:WORD_1 src1_sel:DWORD
	;; [unrolled: 5-line block ×3, first 2 shown]
	s_waitcnt lgkmcnt(1)
	v_lshrrev_b32_e32 v100, 16, v44
	v_fma_f16 v71, v72, v46, v71
	v_mul_f16_sdwa v46, v68, v46 dst_sel:DWORD dst_unused:UNUSED_PAD src0_sel:WORD_1 src1_sel:DWORD
	v_fma_f16 v46, v72, v95, -v46
	v_mul_f16_e32 v95, v69, v100
	s_waitcnt lgkmcnt(0)
	v_lshrrev_b32_e32 v101, 16, v42
	v_fma_f16 v95, v67, v44, v95
	v_mul_f16_e32 v44, v69, v44
	v_lshrrev_b32_e32 v97, 16, v43
	v_fma_f16 v44, v67, v100, -v44
	v_mul_f16_e32 v67, v70, v101
	v_mul_f16_sdwa v72, v17, v97 dst_sel:DWORD dst_unused:UNUSED_PAD src0_sel:WORD_1 src1_sel:DWORD
	v_fma_f16 v67, v68, v42, v67
	v_mul_f16_e32 v42, v70, v42
	v_lshrrev_b32_e32 v98, 16, v41
	v_fma_f16 v72, v17, v43, v72
	v_mul_f16_sdwa v43, v17, v43 dst_sel:DWORD dst_unused:UNUSED_PAD src0_sel:WORD_1 src1_sel:DWORD
	v_fma_f16 v42, v68, v101, -v42
	v_mul_f16_sdwa v68, v17, v93 dst_sel:DWORD dst_unused:UNUSED_PAD src0_sel:WORD_1 src1_sel:DWORD
	v_mul_f16_sdwa v69, v17, v92 dst_sel:DWORD dst_unused:UNUSED_PAD src0_sel:WORD_1 src1_sel:DWORD
	v_fma_f16 v43, v17, v97, -v43
	v_mul_f16_sdwa v94, v18, v98 dst_sel:DWORD dst_unused:UNUSED_PAD src0_sel:WORD_1 src1_sel:DWORD
	v_fma_f16 v68, v17, v92, v68
	v_fma_f16 v17, v17, v93, -v69
	v_mul_f16_sdwa v69, v18, v86 dst_sel:DWORD dst_unused:UNUSED_PAD src0_sel:WORD_1 src1_sel:DWORD
	v_fma_f16 v94, v18, v41, v94
	v_mul_f16_sdwa v41, v18, v41 dst_sel:DWORD dst_unused:UNUSED_PAD src0_sel:WORD_1 src1_sel:DWORD
	v_fma_f16 v69, v18, v85, v69
	v_mul_f16_sdwa v70, v18, v85 dst_sel:DWORD dst_unused:UNUSED_PAD src0_sel:WORD_1 src1_sel:DWORD
	v_add_f16_e32 v85, v102, v89
	v_lshrrev_b32_e32 v66, 16, v39
	v_fma_f16 v41, v18, v98, -v41
	v_fma_f16 v18, v18, v86, -v70
	v_add_f16_e32 v70, v39, v102
	v_fma_f16 v39, v85, -0.5, v39
	v_sub_f16_e32 v85, v47, v45
	s_mov_b32 s0, 0xbaee
	s_movk_i32 s1, 0x3aee
	v_fma_f16 v86, v85, s0, v39
	v_fma_f16 v39, v85, s1, v39
	v_add_f16_e32 v85, v66, v47
	v_add_f16_e32 v85, v85, v45
	;; [unrolled: 1-line block ×3, first 2 shown]
	v_fma_f16 v45, v45, -0.5, v66
	v_sub_f16_e32 v47, v102, v89
	v_add_f16_e32 v70, v70, v89
	v_fma_f16 v89, v47, s1, v45
	v_fma_f16 v45, v47, s0, v45
	v_add_f16_e32 v47, v40, v90
	v_add_f16_e32 v92, v47, v71
	v_add_f16_e32 v47, v90, v71
	v_lshrrev_b32_e32 v91, 16, v40
	v_fma_f16 v40, v47, -0.5, v40
	v_sub_f16_e32 v47, v48, v46
	v_fma_f16 v93, v47, s0, v40
	v_fma_f16 v40, v47, s1, v40
	v_add_f16_e32 v47, v91, v48
	v_add_f16_e32 v97, v47, v46
	;; [unrolled: 1-line block ×3, first 2 shown]
	v_fma_f16 v46, v46, -0.5, v91
	v_sub_f16_e32 v47, v90, v71
	v_fma_f16 v71, v47, s1, v46
	v_fma_f16 v46, v47, s0, v46
	v_add_f16_e32 v47, v37, v72
	v_add_f16_e32 v90, v47, v94
	;; [unrolled: 1-line block ×3, first 2 shown]
	v_lshrrev_b32_e32 v96, 16, v37
	v_fma_f16 v37, v47, -0.5, v37
	v_sub_f16_e32 v47, v43, v41
	v_fma_f16 v91, v47, s0, v37
	v_fma_f16 v37, v47, s1, v37
	v_add_f16_e32 v47, v96, v43
	v_add_f16_e32 v98, v47, v41
	;; [unrolled: 1-line block ×3, first 2 shown]
	v_fma_f16 v41, v41, -0.5, v96
	v_sub_f16_e32 v43, v72, v94
	v_add_f16_e32 v47, v95, v67
	v_lshrrev_b32_e32 v99, 16, v38
	v_fma_f16 v72, v43, s1, v41
	v_fma_f16 v41, v43, s0, v41
	v_add_f16_e32 v43, v38, v95
	v_fma_f16 v38, v47, -0.5, v38
	v_sub_f16_e32 v47, v44, v42
	v_fma_f16 v94, v47, s0, v38
	v_fma_f16 v38, v47, s1, v38
	v_add_f16_e32 v47, v99, v44
	v_add_f16_e32 v96, v47, v42
	;; [unrolled: 1-line block ×3, first 2 shown]
	v_fma_f16 v42, v42, -0.5, v99
	v_sub_f16_e32 v44, v95, v67
	v_fma_f16 v95, v44, s1, v42
	v_fma_f16 v42, v44, s0, v42
	v_add_f16_e32 v44, v87, v68
	v_add_f16_e32 v47, v69, v44
	;; [unrolled: 1-line block ×3, first 2 shown]
	v_fma_f16 v44, v44, -0.5, v87
	v_sub_f16_e32 v48, v17, v18
	v_add_f16_e32 v43, v43, v67
	v_fma_f16 v66, v48, s0, v44
	v_fma_f16 v67, v48, s1, v44
	v_add_f16_e32 v44, v17, v88
	v_add_f16_e32 v17, v18, v17
	;; [unrolled: 1-line block ×3, first 2 shown]
	v_fma_f16 v17, v17, -0.5, v88
	v_sub_f16_e32 v18, v68, v69
	v_fma_f16 v68, v18, s1, v17
	v_fma_f16 v69, v18, s0, v17
	v_pack_b32_f16 v17, v70, v85
	v_pack_b32_f16 v18, v86, v89
	s_barrier
	ds_write2_b32 v73, v17, v18 offset1:4
	v_pack_b32_f16 v17, v39, v45
	ds_write_b32 v73, v17 offset:32
	v_pack_b32_f16 v17, v92, v97
	v_pack_b32_f16 v18, v93, v71
	ds_write2_b32 v74, v17, v18 offset1:4
	v_pack_b32_f16 v17, v40, v46
	ds_write_b32 v74, v17 offset:32
	v_pack_b32_f16 v17, v90, v98
	v_pack_b32_f16 v18, v91, v72
	;; [unrolled: 5-line block ×3, first 2 shown]
	ds_write2_b32 v77, v17, v18 offset1:4
	v_pack_b32_f16 v17, v38, v42
	ds_write_b32 v77, v17 offset:32
	s_and_saveexec_b64 s[0:1], vcc
	s_cbranch_execz .LBB0_13
; %bb.12:
	v_mul_u32_u24_e32 v17, 12, v76
	v_or_b32_e32 v17, v17, v65
	s_mov_b32 s4, 0x5040100
	v_lshlrev_b32_e32 v17, 2, v17
	v_perm_b32 v18, v48, v47, s4
	v_perm_b32 v37, v68, v66, s4
	ds_write2_b32 v17, v18, v37 offset1:4
	v_perm_b32 v18, v69, v67, s4
	ds_write_b32 v17, v18 offset:32
.LBB0_13:
	s_or_b64 exec, exec, s[0:1]
	v_add_u32_e32 v17, 0x800, v64
	s_waitcnt lgkmcnt(0)
	s_barrier
	ds_read2_b32 v[43:44], v17 offset0:76 offset1:202
	v_add_u32_e32 v17, 0x1200, v64
	ds_read2_b32 v[45:46], v17 offset0:24 offset1:150
	v_add_u32_e32 v17, 0x200, v64
	v_add_u32_e32 v39, 0xc00, v64
	;; [unrolled: 1-line block ×3, first 2 shown]
	ds_read2_b32 v[37:38], v64 offset1:126
	ds_read2_b32 v[17:18], v17 offset0:124 offset1:250
	ds_read2_b32 v[39:40], v39 offset0:72 offset1:198
	;; [unrolled: 1-line block ×3, first 2 shown]
	s_and_saveexec_b64 s[0:1], vcc
	s_cbranch_execz .LBB0_15
; %bb.14:
	ds_read_b32 v47, v64 offset:2016
	ds_read_b32 v66, v64 offset:4368
	;; [unrolled: 1-line block ×3, first 2 shown]
	s_waitcnt lgkmcnt(2)
	v_lshrrev_b32_e32 v48, 16, v47
	s_waitcnt lgkmcnt(1)
	v_lshrrev_b32_e32 v68, 16, v66
	;; [unrolled: 2-line block ×3, first 2 shown]
.LBB0_15:
	s_or_b64 exec, exec, s[0:1]
	s_waitcnt lgkmcnt(5)
	v_lshrrev_b32_e32 v70, 16, v43
	v_mul_f16_sdwa v88, v25, v70 dst_sel:DWORD dst_unused:UNUSED_PAD src0_sel:WORD_1 src1_sel:DWORD
	s_waitcnt lgkmcnt(4)
	v_lshrrev_b32_e32 v71, 16, v45
	v_fma_f16 v88, v25, v43, v88
	v_mul_f16_sdwa v43, v25, v43 dst_sel:DWORD dst_unused:UNUSED_PAD src0_sel:WORD_1 src1_sel:DWORD
	v_fma_f16 v25, v25, v70, -v43
	v_mul_f16_sdwa v43, v26, v71 dst_sel:DWORD dst_unused:UNUSED_PAD src0_sel:WORD_1 src1_sel:DWORD
	v_lshrrev_b32_e32 v73, 16, v44
	v_fma_f16 v43, v26, v45, v43
	v_mul_f16_sdwa v45, v26, v45 dst_sel:DWORD dst_unused:UNUSED_PAD src0_sel:WORD_1 src1_sel:DWORD
	v_fma_f16 v26, v26, v71, -v45
	v_mul_f16_sdwa v45, v23, v73 dst_sel:DWORD dst_unused:UNUSED_PAD src0_sel:WORD_1 src1_sel:DWORD
	;; [unrolled: 5-line block ×3, first 2 shown]
	s_waitcnt lgkmcnt(1)
	v_lshrrev_b32_e32 v76, 16, v39
	v_fma_f16 v44, v24, v46, v44
	v_mul_f16_sdwa v46, v24, v46 dst_sel:DWORD dst_unused:UNUSED_PAD src0_sel:WORD_1 src1_sel:DWORD
	v_fma_f16 v24, v24, v74, -v46
	v_mul_f16_sdwa v46, v21, v76 dst_sel:DWORD dst_unused:UNUSED_PAD src0_sel:WORD_1 src1_sel:DWORD
	s_waitcnt lgkmcnt(0)
	v_lshrrev_b32_e32 v77, 16, v41
	v_fma_f16 v46, v21, v39, v46
	v_mul_f16_sdwa v39, v21, v39 dst_sel:DWORD dst_unused:UNUSED_PAD src0_sel:WORD_1 src1_sel:DWORD
	v_fma_f16 v21, v21, v76, -v39
	v_mul_f16_sdwa v39, v22, v77 dst_sel:DWORD dst_unused:UNUSED_PAD src0_sel:WORD_1 src1_sel:DWORD
	v_lshrrev_b32_e32 v86, 16, v40
	v_fma_f16 v39, v22, v41, v39
	v_mul_f16_sdwa v41, v22, v41 dst_sel:DWORD dst_unused:UNUSED_PAD src0_sel:WORD_1 src1_sel:DWORD
	v_fma_f16 v22, v22, v77, -v41
	v_mul_f16_sdwa v41, v27, v86 dst_sel:DWORD dst_unused:UNUSED_PAD src0_sel:WORD_1 src1_sel:DWORD
	;; [unrolled: 5-line block ×3, first 2 shown]
	v_fma_f16 v40, v28, v42, v40
	v_mul_f16_sdwa v42, v28, v42 dst_sel:DWORD dst_unused:UNUSED_PAD src0_sel:WORD_1 src1_sel:DWORD
	v_add_f16_e32 v70, v88, v43
	v_lshrrev_b32_e32 v65, 16, v37
	v_fma_f16 v28, v28, v87, -v42
	v_add_f16_e32 v42, v37, v88
	v_fma_f16 v37, v70, -0.5, v37
	v_sub_f16_e32 v70, v25, v26
	s_mov_b32 s4, 0xbaee
	s_movk_i32 s5, 0x3aee
	v_fma_f16 v71, v70, s4, v37
	v_fma_f16 v37, v70, s5, v37
	v_add_f16_e32 v70, v65, v25
	v_add_f16_e32 v25, v25, v26
	v_add_f16_e32 v70, v70, v26
	v_fma_f16 v25, v25, -0.5, v65
	v_sub_f16_e32 v26, v88, v43
	v_add_f16_e32 v65, v45, v44
	v_lshrrev_b32_e32 v72, 16, v38
	v_add_f16_e32 v42, v42, v43
	v_fma_f16 v43, v26, s5, v25
	v_fma_f16 v25, v26, s4, v25
	v_add_f16_e32 v26, v38, v45
	v_fma_f16 v38, v65, -0.5, v38
	v_sub_f16_e32 v65, v23, v24
	v_fma_f16 v73, v65, s4, v38
	v_fma_f16 v38, v65, s5, v38
	v_add_f16_e32 v65, v72, v23
	v_add_f16_e32 v23, v23, v24
	v_add_f16_e32 v65, v65, v24
	v_fma_f16 v23, v23, -0.5, v72
	v_sub_f16_e32 v24, v45, v44
	v_add_f16_e32 v45, v46, v39
	v_lshrrev_b32_e32 v75, 16, v17
	v_add_f16_e32 v26, v26, v44
	v_fma_f16 v44, v24, s5, v23
	v_fma_f16 v23, v24, s4, v23
	v_add_f16_e32 v24, v17, v46
	v_fma_f16 v17, v45, -0.5, v17
	v_sub_f16_e32 v45, v21, v22
	;; [unrolled: 15-line block ×3, first 2 shown]
	v_fma_f16 v74, v46, s4, v18
	v_fma_f16 v18, v46, s5, v18
	v_add_f16_e32 v46, v85, v27
	v_add_f16_e32 v27, v27, v28
	;; [unrolled: 1-line block ×3, first 2 shown]
	v_fma_f16 v27, v27, -0.5, v85
	v_sub_f16_e32 v28, v41, v40
	v_pack_b32_f16 v25, v37, v25
	v_add_f16_e32 v22, v22, v40
	v_fma_f16 v40, v28, s5, v27
	v_fma_f16 v27, v28, s4, v27
	s_barrier
	v_pack_b32_f16 v28, v42, v70
	v_pack_b32_f16 v41, v71, v43
	ds_write_b32 v79, v25 offset:96
	v_pack_b32_f16 v25, v26, v65
	v_pack_b32_f16 v26, v73, v44
	;; [unrolled: 1-line block ×4, first 2 shown]
	ds_write2_b32 v79, v28, v41 offset1:12
	ds_write2_b32 v80, v25, v26 offset1:12
	ds_write_b32 v80, v23 offset:96
	v_pack_b32_f16 v23, v24, v45
	v_pack_b32_f16 v24, v72, v39
	ds_write_b32 v81, v17 offset:96
	v_pack_b32_f16 v17, v22, v46
	v_pack_b32_f16 v21, v74, v40
	ds_write2_b32 v81, v23, v24 offset1:12
	ds_write2_b32 v82, v17, v21 offset1:12
	v_pack_b32_f16 v17, v18, v27
	ds_write_b32 v82, v17 offset:96
	s_and_saveexec_b64 s[0:1], vcc
	s_cbranch_execz .LBB0_17
; %bb.16:
	v_mul_f16_sdwa v17, v19, v68 dst_sel:DWORD dst_unused:UNUSED_PAD src0_sel:WORD_1 src1_sel:DWORD
	v_mul_f16_sdwa v22, v19, v66 dst_sel:DWORD dst_unused:UNUSED_PAD src0_sel:WORD_1 src1_sel:DWORD
	v_fma_f16 v17, v19, v66, v17
	v_mul_f16_sdwa v18, v20, v69 dst_sel:DWORD dst_unused:UNUSED_PAD src0_sel:WORD_1 src1_sel:DWORD
	v_fma_f16 v19, v19, v68, -v22
	v_mul_f16_sdwa v22, v20, v67 dst_sel:DWORD dst_unused:UNUSED_PAD src0_sel:WORD_1 src1_sel:DWORD
	v_fma_f16 v18, v20, v67, v18
	v_fma_f16 v20, v20, v69, -v22
	v_add_f16_e32 v22, v20, v19
	v_add_f16_e32 v24, v18, v17
	v_sub_f16_e32 v21, v17, v18
	v_fma_f16 v22, v22, -0.5, v48
	v_fma_f16 v24, v24, -0.5, v47
	v_sub_f16_e32 v25, v19, v20
	v_add_f16_e32 v19, v19, v48
	v_add_f16_e32 v17, v47, v17
	v_fma_f16 v23, v21, s5, v22
	v_fma_f16 v26, v25, s4, v24
	v_add_f16_e32 v19, v20, v19
	v_add_f16_e32 v17, v18, v17
	v_fma_f16 v18, v21, s4, v22
	v_fma_f16 v20, v25, s5, v24
	v_lshlrev_b32_e32 v21, 2, v78
	v_pack_b32_f16 v17, v17, v19
	v_pack_b32_f16 v19, v26, v23
	ds_write2_b32 v21, v17, v19 offset1:12
	v_pack_b32_f16 v17, v20, v18
	ds_write_b32 v21, v17 offset:96
.LBB0_17:
	s_or_b64 exec, exec, s[0:1]
	v_add_u32_e32 v20, 0x200, v64
	s_waitcnt lgkmcnt(0)
	s_barrier
	ds_read2_b32 v[23:24], v20 offset0:124 offset1:250
	ds_read2_b32 v[25:26], v64 offset1:126
	v_add_u32_e32 v18, 0x600, v64
	ds_read2_b32 v[27:28], v18 offset0:120 offset1:246
	v_add_u32_e32 v22, 0xa00, v64
	ds_read2_b32 v[37:38], v22 offset0:116 offset1:242
	s_waitcnt lgkmcnt(3)
	v_lshrrev_b32_e32 v45, 16, v23
	v_add_u32_e32 v21, 0xe00, v64
	ds_read2_b32 v[39:40], v21 offset0:112 offset1:238
	v_mul_f16_sdwa v73, v0, v45 dst_sel:DWORD dst_unused:UNUSED_PAD src0_sel:WORD_1 src1_sel:DWORD
	v_add_u32_e32 v19, 0x1200, v64
	s_waitcnt lgkmcnt(2)
	v_lshrrev_b32_e32 v46, 16, v27
	v_fma_f16 v73, v0, v23, v73
	v_mul_f16_sdwa v23, v0, v23 dst_sel:DWORD dst_unused:UNUSED_PAD src0_sel:WORD_1 src1_sel:DWORD
	ds_read2_b32 v[41:42], v19 offset0:108 offset1:234
	v_fma_f16 v0, v0, v45, -v23
	v_mul_f16_sdwa v23, v1, v46 dst_sel:DWORD dst_unused:UNUSED_PAD src0_sel:WORD_1 src1_sel:DWORD
	v_add_u32_e32 v17, 0x1600, v64
	s_waitcnt lgkmcnt(2)
	v_lshrrev_b32_e32 v47, 16, v37
	v_fma_f16 v23, v1, v27, v23
	v_mul_f16_sdwa v27, v1, v27 dst_sel:DWORD dst_unused:UNUSED_PAD src0_sel:WORD_1 src1_sel:DWORD
	ds_read2_b32 v[43:44], v17 offset0:104 offset1:230
	v_fma_f16 v1, v1, v46, -v27
	v_mul_f16_sdwa v27, v2, v47 dst_sel:DWORD dst_unused:UNUSED_PAD src0_sel:WORD_1 src1_sel:DWORD
	s_waitcnt lgkmcnt(2)
	v_lshrrev_b32_e32 v48, 16, v39
	v_fma_f16 v27, v2, v37, v27
	v_mul_f16_sdwa v37, v2, v37 dst_sel:DWORD dst_unused:UNUSED_PAD src0_sel:WORD_1 src1_sel:DWORD
	v_fma_f16 v2, v2, v47, -v37
	v_mul_f16_sdwa v37, v3, v48 dst_sel:DWORD dst_unused:UNUSED_PAD src0_sel:WORD_1 src1_sel:DWORD
	s_waitcnt lgkmcnt(1)
	v_lshrrev_b32_e32 v65, 16, v41
	v_fma_f16 v37, v3, v39, v37
	v_mul_f16_sdwa v39, v3, v39 dst_sel:DWORD dst_unused:UNUSED_PAD src0_sel:WORD_1 src1_sel:DWORD
	v_fma_f16 v3, v3, v48, -v39
	v_mul_f16_sdwa v39, v31, v65 dst_sel:DWORD dst_unused:UNUSED_PAD src0_sel:WORD_1 src1_sel:DWORD
	s_waitcnt lgkmcnt(0)
	v_lshrrev_b32_e32 v66, 16, v43
	v_fma_f16 v39, v31, v41, v39
	v_mul_f16_sdwa v41, v31, v41 dst_sel:DWORD dst_unused:UNUSED_PAD src0_sel:WORD_1 src1_sel:DWORD
	v_fma_f16 v31, v31, v65, -v41
	v_mul_f16_sdwa v41, v32, v66 dst_sel:DWORD dst_unused:UNUSED_PAD src0_sel:WORD_1 src1_sel:DWORD
	v_lshrrev_b32_e32 v67, 16, v24
	v_fma_f16 v41, v32, v43, v41
	v_mul_f16_sdwa v43, v32, v43 dst_sel:DWORD dst_unused:UNUSED_PAD src0_sel:WORD_1 src1_sel:DWORD
	v_fma_f16 v32, v32, v66, -v43
	v_mul_f16_sdwa v43, v4, v67 dst_sel:DWORD dst_unused:UNUSED_PAD src0_sel:WORD_1 src1_sel:DWORD
	v_lshrrev_b32_e32 v68, 16, v28
	v_fma_f16 v43, v4, v24, v43
	v_mul_f16_sdwa v24, v4, v24 dst_sel:DWORD dst_unused:UNUSED_PAD src0_sel:WORD_1 src1_sel:DWORD
	;; [unrolled: 5-line block ×6, first 2 shown]
	v_fma_f16 v29, v29, v71, -v42
	v_mul_f16_sdwa v42, v30, v72 dst_sel:DWORD dst_unused:UNUSED_PAD src0_sel:WORD_1 src1_sel:DWORD
	v_fma_f16 v42, v30, v44, v42
	v_mul_f16_sdwa v44, v30, v44 dst_sel:DWORD dst_unused:UNUSED_PAD src0_sel:WORD_1 src1_sel:DWORD
	v_fma_f16 v30, v30, v72, -v44
	v_add_f16_e32 v44, v73, v41
	v_add_f16_e32 v45, v0, v32
	v_sub_f16_e32 v0, v0, v32
	v_add_f16_e32 v32, v23, v39
	v_add_f16_e32 v46, v1, v31
	v_sub_f16_e32 v41, v73, v41
	v_sub_f16_e32 v23, v23, v39
	;; [unrolled: 1-line block ×3, first 2 shown]
	v_add_f16_e32 v31, v27, v37
	v_add_f16_e32 v39, v2, v3
	v_sub_f16_e32 v27, v37, v27
	v_sub_f16_e32 v2, v3, v2
	v_add_f16_e32 v3, v32, v44
	v_add_f16_e32 v37, v46, v45
	v_sub_f16_e32 v47, v32, v44
	v_sub_f16_e32 v48, v46, v45
	;; [unrolled: 1-line block ×6, first 2 shown]
	v_add_f16_e32 v65, v27, v23
	v_add_f16_e32 v66, v2, v1
	v_sub_f16_e32 v67, v27, v23
	v_sub_f16_e32 v68, v2, v1
	;; [unrolled: 1-line block ×4, first 2 shown]
	v_add_f16_e32 v3, v31, v3
	v_add_f16_e32 v31, v39, v37
	v_sub_f16_e32 v27, v41, v27
	v_sub_f16_e32 v2, v0, v2
	v_add_f16_e32 v37, v65, v41
	v_add_f16_e32 v0, v66, v0
	;; [unrolled: 1-line block ×3, first 2 shown]
	v_add_f16_sdwa v25, v25, v31 dst_sel:DWORD dst_unused:UNUSED_PAD src0_sel:WORD_1 src1_sel:DWORD
	v_mul_f16_e32 v41, 0x3a52, v44
	v_mul_f16_e32 v44, 0x3a52, v45
	s_movk_i32 s1, 0x2b26
	v_mul_f16_e32 v45, 0x2b26, v32
	v_mul_f16_e32 v65, 0x2b26, v46
	;; [unrolled: 1-line block ×4, first 2 shown]
	s_mov_b32 s0, 0xbb00
	v_mul_f16_e32 v68, 0xbb00, v23
	v_mul_f16_e32 v69, 0xbb00, v1
	s_mov_b32 s4, 0xbcab
	s_movk_i32 s5, 0x39e0
	s_mov_b32 s7, 0xb9e0
	s_mov_b32 s12, 0xb574
	s_movk_i32 s13, 0x3574
	v_fma_f16 v3, v3, s4, v39
	v_fma_f16 v31, v31, s4, v25
	;; [unrolled: 1-line block ×4, first 2 shown]
	v_fma_f16 v45, v47, s5, -v45
	v_fma_f16 v65, v48, s5, -v65
	;; [unrolled: 1-line block ×4, first 2 shown]
	v_fma_f16 v47, v27, s12, v66
	v_fma_f16 v48, v2, s12, v67
	v_fma_f16 v1, v1, s0, -v67
	v_fma_f16 v27, v27, s13, -v68
	;; [unrolled: 1-line block ×3, first 2 shown]
	s_mov_b32 s6, 0xb70e
	v_fma_f16 v23, v23, s0, -v66
	v_add_f16_e32 v32, v32, v3
	v_add_f16_e32 v46, v46, v31
	;; [unrolled: 1-line block ×6, first 2 shown]
	v_fma_f16 v41, v37, s6, v47
	v_fma_f16 v44, v0, s6, v48
	;; [unrolled: 1-line block ×6, first 2 shown]
	v_add_f16_e32 v2, v44, v32
	v_sub_f16_e32 v37, v46, v41
	v_add_f16_e32 v47, v0, v3
	v_sub_f16_e32 v48, v31, v27
	v_sub_f16_e32 v0, v3, v0
	v_add_f16_e32 v3, v27, v31
	v_sub_f16_e32 v27, v32, v44
	v_add_f16_e32 v31, v41, v46
	v_add_f16_e32 v32, v43, v42
	;; [unrolled: 1-line block ×3, first 2 shown]
	v_sub_f16_e32 v42, v43, v42
	v_sub_f16_e32 v4, v4, v30
	v_add_f16_e32 v30, v24, v40
	v_add_f16_e32 v43, v5, v29
	v_sub_f16_e32 v24, v24, v40
	v_sub_f16_e32 v5, v5, v29
	v_add_f16_e32 v29, v28, v38
	v_add_f16_e32 v40, v6, v7
	;; [unrolled: 4-line block ×3, first 2 shown]
	v_sub_f16_e32 v66, v45, v1
	v_add_f16_e32 v67, v23, v65
	v_add_f16_e32 v1, v1, v45
	v_sub_f16_e32 v23, v65, v23
	v_sub_f16_e32 v44, v30, v32
	v_sub_f16_e32 v45, v43, v41
	v_sub_f16_e32 v32, v32, v29
	v_sub_f16_e32 v41, v41, v40
	v_sub_f16_e32 v30, v29, v30
	v_sub_f16_e32 v43, v40, v43
	v_add_f16_e32 v46, v28, v24
	v_add_f16_e32 v65, v6, v5
	v_sub_f16_e32 v68, v28, v24
	v_sub_f16_e32 v69, v6, v5
	v_add_f16_e32 v7, v29, v7
	v_add_f16_e32 v29, v40, v38
	v_sub_f16_e32 v28, v42, v28
	v_sub_f16_e32 v6, v4, v6
	;; [unrolled: 1-line block ×4, first 2 shown]
	v_add_f16_e32 v38, v46, v42
	v_add_f16_e32 v4, v65, v4
	v_add_f16_e32 v40, v26, v7
	v_add_f16_sdwa v26, v26, v29 dst_sel:DWORD dst_unused:UNUSED_PAD src0_sel:WORD_1 src1_sel:DWORD
	v_mul_f16_e32 v32, 0x3a52, v32
	v_mul_f16_e32 v41, 0x3a52, v41
	;; [unrolled: 1-line block ×8, first 2 shown]
	v_fma_f16 v7, v7, s4, v40
	v_fma_f16 v29, v29, s4, v26
	v_fma_f16 v30, v30, s1, v32
	v_fma_f16 v43, v43, s1, v41
	v_fma_f16 v42, v44, s5, -v42
	v_fma_f16 v46, v45, s5, -v46
	;; [unrolled: 1-line block ×4, first 2 shown]
	v_fma_f16 v44, v28, s12, v65
	v_fma_f16 v45, v6, s12, v68
	v_fma_f16 v24, v24, s0, -v65
	v_fma_f16 v5, v5, s0, -v68
	;; [unrolled: 1-line block ×4, first 2 shown]
	v_add_f16_e32 v30, v30, v7
	v_add_f16_e32 v43, v43, v29
	;; [unrolled: 1-line block ×6, first 2 shown]
	v_fma_f16 v32, v38, s6, v44
	v_fma_f16 v41, v4, s6, v45
	v_pack_b32_f16 v1, v1, v23
	v_pack_b32_f16 v0, v0, v3
	v_fma_f16 v24, v38, s6, v24
	v_fma_f16 v5, v4, s6, v5
	;; [unrolled: 1-line block ×4, first 2 shown]
	v_add_f16_e32 v6, v41, v30
	v_sub_f16_e32 v38, v43, v32
	s_barrier
	v_pack_b32_f16 v25, v39, v25
	v_pack_b32_f16 v2, v2, v37
	ds_write2_b32 v83, v1, v0 offset0:144 offset1:180
	v_pack_b32_f16 v0, v27, v31
	v_add_f16_e32 v44, v4, v7
	v_sub_f16_e32 v45, v29, v28
	v_sub_f16_e32 v65, v42, v5
	v_add_f16_e32 v68, v24, v46
	ds_write2_b32 v83, v25, v2 offset1:36
	v_pack_b32_f16 v2, v47, v48
	v_pack_b32_f16 v25, v66, v67
	ds_write_b32 v83, v0 offset:864
	v_pack_b32_f16 v0, v40, v26
	v_pack_b32_f16 v1, v6, v38
	v_add_f16_e32 v5, v5, v42
	v_sub_f16_e32 v24, v46, v24
	v_sub_f16_e32 v4, v7, v4
	v_add_f16_e32 v7, v28, v29
	ds_write2_b32 v83, v2, v25 offset0:72 offset1:108
	ds_write2_b32 v84, v0, v1 offset1:36
	v_pack_b32_f16 v0, v44, v45
	v_pack_b32_f16 v1, v65, v68
	v_sub_f16_e32 v28, v30, v41
	v_add_f16_e32 v29, v32, v43
	ds_write2_b32 v84, v0, v1 offset0:72 offset1:108
	v_pack_b32_f16 v0, v5, v24
	v_pack_b32_f16 v1, v4, v7
	ds_write2_b32 v84, v0, v1 offset0:144 offset1:180
	v_pack_b32_f16 v0, v28, v29
	ds_write_b32 v84, v0 offset:864
	s_waitcnt lgkmcnt(0)
	s_barrier
	ds_read2_b32 v[0:1], v20 offset0:124 offset1:250
	ds_read2_b32 v[2:3], v64 offset1:126
	ds_read2_b32 v[4:5], v18 offset0:120 offset1:246
	ds_read2_b32 v[6:7], v22 offset0:116 offset1:242
	;; [unrolled: 1-line block ×5, first 2 shown]
	s_waitcnt lgkmcnt(4)
	v_lshrrev_b32_e32 v30, 16, v4
	s_waitcnt lgkmcnt(3)
	v_lshrrev_b32_e32 v31, 16, v6
	v_lshrrev_b32_e32 v29, 16, v0
	v_mul_f16_sdwa v45, v8, v29 dst_sel:DWORD dst_unused:UNUSED_PAD src0_sel:WORD_1 src1_sel:DWORD
	v_fma_f16 v45, v8, v0, v45
	v_mul_f16_sdwa v0, v8, v0 dst_sel:DWORD dst_unused:UNUSED_PAD src0_sel:WORD_1 src1_sel:DWORD
	v_fma_f16 v0, v8, v29, -v0
	v_mul_f16_sdwa v8, v9, v30 dst_sel:DWORD dst_unused:UNUSED_PAD src0_sel:WORD_1 src1_sel:DWORD
	v_lshrrev_b32_e32 v39, 16, v1
	v_fma_f16 v8, v9, v4, v8
	v_mul_f16_sdwa v4, v9, v4 dst_sel:DWORD dst_unused:UNUSED_PAD src0_sel:WORD_1 src1_sel:DWORD
	v_fma_f16 v4, v9, v30, -v4
	v_mul_f16_sdwa v30, v12, v39 dst_sel:DWORD dst_unused:UNUSED_PAD src0_sel:WORD_1 src1_sel:DWORD
	v_lshrrev_b32_e32 v40, 16, v5
	v_mul_f16_sdwa v9, v10, v31 dst_sel:DWORD dst_unused:UNUSED_PAD src0_sel:WORD_1 src1_sel:DWORD
	v_fma_f16 v30, v12, v1, v30
	v_mul_f16_sdwa v1, v12, v1 dst_sel:DWORD dst_unused:UNUSED_PAD src0_sel:WORD_1 src1_sel:DWORD
	s_waitcnt lgkmcnt(2)
	v_lshrrev_b32_e32 v32, 16, v23
	v_fma_f16 v9, v10, v6, v9
	v_mul_f16_sdwa v6, v10, v6 dst_sel:DWORD dst_unused:UNUSED_PAD src0_sel:WORD_1 src1_sel:DWORD
	v_fma_f16 v1, v12, v39, -v1
	v_mul_f16_sdwa v12, v13, v40 dst_sel:DWORD dst_unused:UNUSED_PAD src0_sel:WORD_1 src1_sel:DWORD
	v_lshrrev_b32_e32 v41, 16, v7
	v_fma_f16 v6, v10, v31, -v6
	v_mul_f16_sdwa v10, v11, v32 dst_sel:DWORD dst_unused:UNUSED_PAD src0_sel:WORD_1 src1_sel:DWORD
	v_fma_f16 v12, v13, v5, v12
	v_mul_f16_sdwa v5, v13, v5 dst_sel:DWORD dst_unused:UNUSED_PAD src0_sel:WORD_1 src1_sel:DWORD
	s_waitcnt lgkmcnt(1)
	v_lshrrev_b32_e32 v37, 16, v25
	s_waitcnt lgkmcnt(0)
	v_lshrrev_b32_e32 v38, 16, v27
	v_fma_f16 v10, v11, v23, v10
	v_mul_f16_sdwa v23, v11, v23 dst_sel:DWORD dst_unused:UNUSED_PAD src0_sel:WORD_1 src1_sel:DWORD
	v_fma_f16 v5, v13, v40, -v5
	v_mul_f16_sdwa v13, v14, v41 dst_sel:DWORD dst_unused:UNUSED_PAD src0_sel:WORD_1 src1_sel:DWORD
	v_lshrrev_b32_e32 v42, 16, v24
	v_fma_f16 v11, v11, v32, -v23
	v_mul_f16_sdwa v23, v33, v37 dst_sel:DWORD dst_unused:UNUSED_PAD src0_sel:WORD_1 src1_sel:DWORD
	v_mul_f16_sdwa v29, v34, v38 dst_sel:DWORD dst_unused:UNUSED_PAD src0_sel:WORD_1 src1_sel:DWORD
	v_fma_f16 v13, v14, v7, v13
	v_mul_f16_sdwa v7, v14, v7 dst_sel:DWORD dst_unused:UNUSED_PAD src0_sel:WORD_1 src1_sel:DWORD
	v_fma_f16 v23, v33, v25, v23
	;; [unrolled: 2-line block ×3, first 2 shown]
	v_mul_f16_sdwa v27, v34, v27 dst_sel:DWORD dst_unused:UNUSED_PAD src0_sel:WORD_1 src1_sel:DWORD
	v_fma_f16 v7, v14, v41, -v7
	v_mul_f16_sdwa v14, v15, v42 dst_sel:DWORD dst_unused:UNUSED_PAD src0_sel:WORD_1 src1_sel:DWORD
	v_lshrrev_b32_e32 v43, 16, v26
	v_lshrrev_b32_e32 v44, 16, v28
	v_fma_f16 v25, v33, v37, -v25
	v_fma_f16 v27, v34, v38, -v27
	v_fma_f16 v14, v15, v24, v14
	v_mul_f16_sdwa v24, v15, v24 dst_sel:DWORD dst_unused:UNUSED_PAD src0_sel:WORD_1 src1_sel:DWORD
	v_fma_f16 v15, v15, v42, -v24
	v_mul_f16_sdwa v24, v35, v43 dst_sel:DWORD dst_unused:UNUSED_PAD src0_sel:WORD_1 src1_sel:DWORD
	v_mul_f16_sdwa v31, v36, v44 dst_sel:DWORD dst_unused:UNUSED_PAD src0_sel:WORD_1 src1_sel:DWORD
	v_add_f16_e32 v32, v45, v29
	v_add_f16_e32 v33, v0, v27
	v_sub_f16_e32 v0, v0, v27
	v_add_f16_e32 v27, v8, v23
	v_add_f16_e32 v34, v4, v25
	v_fma_f16 v24, v35, v26, v24
	v_mul_f16_sdwa v26, v35, v26 dst_sel:DWORD dst_unused:UNUSED_PAD src0_sel:WORD_1 src1_sel:DWORD
	v_fma_f16 v31, v36, v28, v31
	v_mul_f16_sdwa v28, v36, v28 dst_sel:DWORD dst_unused:UNUSED_PAD src0_sel:WORD_1 src1_sel:DWORD
	v_sub_f16_e32 v29, v45, v29
	v_sub_f16_e32 v8, v8, v23
	v_sub_f16_e32 v4, v4, v25
	v_add_f16_e32 v23, v9, v10
	v_add_f16_e32 v25, v6, v11
	v_sub_f16_e32 v9, v10, v9
	v_sub_f16_e32 v6, v11, v6
	v_add_f16_e32 v10, v27, v32
	v_add_f16_e32 v11, v34, v33
	v_fma_f16 v26, v35, v43, -v26
	v_fma_f16 v28, v36, v44, -v28
	v_sub_f16_e32 v35, v27, v32
	v_sub_f16_e32 v36, v34, v33
	v_sub_f16_e32 v32, v32, v23
	v_sub_f16_e32 v33, v33, v25
	v_sub_f16_e32 v27, v23, v27
	v_sub_f16_e32 v34, v25, v34
	v_add_f16_e32 v37, v9, v8
	v_add_f16_e32 v38, v6, v4
	v_sub_f16_e32 v39, v9, v8
	v_sub_f16_e32 v40, v6, v4
	;; [unrolled: 1-line block ×4, first 2 shown]
	v_add_f16_e32 v10, v23, v10
	v_add_f16_e32 v11, v25, v11
	v_sub_f16_e32 v9, v29, v9
	v_sub_f16_e32 v6, v0, v6
	v_add_f16_e32 v23, v37, v29
	v_add_f16_e32 v0, v38, v0
	;; [unrolled: 1-line block ×3, first 2 shown]
	v_add_f16_sdwa v2, v2, v11 dst_sel:DWORD dst_unused:UNUSED_PAD src0_sel:WORD_1 src1_sel:DWORD
	v_mul_f16_e32 v29, 0x3a52, v32
	v_mul_f16_e32 v32, 0x3a52, v33
	;; [unrolled: 1-line block ×8, first 2 shown]
	v_fma_f16 v10, v10, s4, v25
	v_fma_f16 v11, v11, s4, v2
	;; [unrolled: 1-line block ×4, first 2 shown]
	v_fma_f16 v33, v35, s5, -v33
	v_fma_f16 v37, v36, s5, -v37
	v_fma_f16 v29, v35, s7, -v29
	v_fma_f16 v32, v36, s7, -v32
	v_fma_f16 v35, v9, s12, v38
	v_fma_f16 v36, v6, s12, v39
	v_fma_f16 v4, v4, s0, -v39
	v_fma_f16 v9, v9, s13, -v40
	v_fma_f16 v6, v6, s13, -v41
	v_fma_f16 v8, v8, s0, -v38
	v_add_f16_e32 v27, v27, v10
	v_add_f16_e32 v34, v34, v11
	v_add_f16_e32 v33, v33, v10
	v_add_f16_e32 v37, v37, v11
	v_add_f16_e32 v10, v29, v10
	v_add_f16_e32 v11, v32, v11
	v_fma_f16 v29, v23, s6, v35
	v_fma_f16 v32, v0, s6, v36
	;; [unrolled: 1-line block ×6, first 2 shown]
	v_add_f16_e32 v6, v32, v27
	v_sub_f16_e32 v23, v34, v29
	v_add_f16_e32 v35, v0, v10
	v_sub_f16_e32 v36, v11, v9
	v_sub_f16_e32 v0, v10, v0
	v_add_f16_e32 v9, v9, v11
	v_sub_f16_e32 v10, v27, v32
	v_add_f16_e32 v11, v29, v34
	v_add_f16_e32 v27, v30, v31
	;; [unrolled: 1-line block ×3, first 2 shown]
	v_sub_f16_e32 v30, v30, v31
	v_sub_f16_e32 v1, v1, v28
	v_add_f16_e32 v28, v12, v24
	v_add_f16_e32 v31, v5, v26
	v_sub_f16_e32 v12, v12, v24
	v_sub_f16_e32 v5, v5, v26
	v_add_f16_e32 v24, v13, v14
	v_add_f16_e32 v26, v7, v15
	;; [unrolled: 4-line block ×3, first 2 shown]
	v_sub_f16_e32 v38, v33, v4
	v_add_f16_e32 v39, v8, v37
	v_add_f16_e32 v4, v4, v33
	v_sub_f16_e32 v8, v37, v8
	v_sub_f16_e32 v32, v28, v27
	;; [unrolled: 1-line block ×7, first 2 shown]
	v_add_f16_e32 v34, v13, v12
	v_add_f16_e32 v37, v7, v5
	v_sub_f16_e32 v40, v13, v12
	v_sub_f16_e32 v41, v7, v5
	v_add_f16_e32 v14, v24, v14
	v_add_f16_e32 v15, v26, v15
	v_sub_f16_e32 v13, v30, v13
	v_sub_f16_e32 v7, v1, v7
	;; [unrolled: 1-line block ×4, first 2 shown]
	v_add_f16_e32 v24, v34, v30
	v_add_f16_e32 v1, v37, v1
	v_add_f16_e32 v26, v3, v14
	v_add_f16_sdwa v3, v3, v15 dst_sel:DWORD dst_unused:UNUSED_PAD src0_sel:WORD_1 src1_sel:DWORD
	v_mul_f16_e32 v27, 0x3a52, v27
	v_mul_f16_e32 v29, 0x3a52, v29
	;; [unrolled: 1-line block ×8, first 2 shown]
	v_fma_f16 v14, v14, s4, v26
	v_fma_f16 v15, v15, s4, v3
	;; [unrolled: 1-line block ×4, first 2 shown]
	v_fma_f16 v30, v32, s5, -v30
	v_fma_f16 v34, v33, s5, -v34
	;; [unrolled: 1-line block ×4, first 2 shown]
	v_fma_f16 v32, v13, s12, v37
	v_fma_f16 v33, v7, s12, v40
	v_pack_b32_f16 v6, v6, v23
	v_pack_b32_f16 v0, v0, v9
	v_fma_f16 v12, v12, s0, -v37
	v_fma_f16 v5, v5, s0, -v40
	;; [unrolled: 1-line block ×4, first 2 shown]
	v_add_f16_e32 v28, v28, v14
	v_add_f16_e32 v31, v31, v15
	;; [unrolled: 1-line block ×6, first 2 shown]
	v_fma_f16 v27, v24, s6, v32
	v_fma_f16 v29, v1, s6, v33
	ds_write_b32 v64, v6 offset:1008
	v_pack_b32_f16 v6, v35, v36
	ds_write_b32 v64, v0 offset:5040
	v_pack_b32_f16 v0, v10, v11
	v_fma_f16 v12, v24, s6, v12
	v_fma_f16 v5, v1, s6, v5
	;; [unrolled: 1-line block ×4, first 2 shown]
	v_add_f16_e32 v7, v29, v28
	v_sub_f16_e32 v24, v31, v27
	v_pack_b32_f16 v2, v25, v2
	ds_write_b32 v64, v6 offset:2016
	v_pack_b32_f16 v6, v38, v39
	v_pack_b32_f16 v4, v4, v8
	ds_write_b32 v64, v0 offset:6048
	v_pack_b32_f16 v0, v26, v3
	v_add_f16_e32 v32, v1, v14
	v_sub_f16_e32 v33, v15, v13
	ds_write_b32 v64, v6 offset:3024
	ds_write_b32 v64, v4 offset:4032
	ds_write2_b32 v64, v2, v0 offset1:126
	v_pack_b32_f16 v0, v7, v24
	v_sub_f16_e32 v37, v30, v5
	v_add_f16_e32 v40, v12, v34
	ds_write_b32 v64, v0 offset:1512
	v_pack_b32_f16 v0, v32, v33
	v_add_f16_e32 v5, v5, v30
	v_sub_f16_e32 v12, v34, v12
	ds_write_b32 v64, v0 offset:2520
	v_pack_b32_f16 v0, v37, v40
	v_sub_f16_e32 v1, v14, v1
	v_add_f16_e32 v13, v13, v15
	ds_write_b32 v64, v0 offset:3528
	v_pack_b32_f16 v0, v5, v12
	v_sub_f16_e32 v14, v28, v29
	v_add_f16_e32 v15, v27, v31
	ds_write_b32 v64, v0 offset:4536
	v_pack_b32_f16 v0, v1, v13
	ds_write_b32 v64, v0 offset:5544
	v_pack_b32_f16 v0, v14, v15
	ds_write_b32 v64, v0 offset:6552
	s_waitcnt lgkmcnt(0)
	s_barrier
	ds_read2_b32 v[2:3], v64 offset1:126
	s_mov_b32 s4, 0x5bb804a5
	s_mov_b32 s5, 0x3f429372
	v_mad_u64_u32 v[4:5], s[0:1], s10, v16, 0
	s_waitcnt lgkmcnt(0)
	v_lshrrev_b32_e32 v7, 16, v2
	v_mul_f16_sdwa v0, v63, v7 dst_sel:DWORD dst_unused:UNUSED_PAD src0_sel:WORD_1 src1_sel:DWORD
	v_fma_f16 v0, v63, v2, v0
	v_cvt_f32_f16_e32 v0, v0
	s_movk_i32 s6, 0x1ff
	v_mad_u64_u32 v[5:6], s[0:1], s11, v16, v[5:6]
	v_cvt_f64_f32_e32 v[0:1], v0
	s_movk_i32 s7, 0xffe
	v_mul_f16_sdwa v2, v63, v2 dst_sel:DWORD dst_unused:UNUSED_PAD src0_sel:WORD_1 src1_sel:DWORD
	v_fma_f16 v2, v63, v7, -v2
	v_mul_f64 v[0:1], v[0:1], s[4:5]
	v_cvt_f32_f16_e32 v7, v2
	v_mov_b32_e32 v2, 0x7c00
	s_movk_i32 s10, 0x40f
	s_mov_b32 s11, 0x8000
	v_lshlrev_b64 v[4:5], 2, v[4:5]
	v_and_or_b32 v0, v1, s6, v0
	v_cmp_ne_u32_e32 vcc, 0, v0
	v_cndmask_b32_e64 v0, 0, 1, vcc
	v_lshrrev_b32_e32 v6, 8, v1
	v_bfe_u32 v8, v1, 20, 11
	v_and_or_b32 v0, v6, s7, v0
	v_sub_u32_e32 v9, 0x3f1, v8
	v_or_b32_e32 v6, 0x1000, v0
	v_med3_i32 v9, v9, 0, 13
	v_lshrrev_b32_e32 v10, v9, v6
	v_lshlrev_b32_e32 v9, v9, v10
	v_cmp_ne_u32_e32 vcc, v9, v6
	v_cndmask_b32_e64 v6, 0, 1, vcc
	v_add_u32_e32 v8, 0xfffffc10, v8
	v_or_b32_e32 v6, v10, v6
	v_lshl_or_b32 v9, v8, 12, v0
	v_cmp_gt_i32_e32 vcc, 1, v8
	v_cndmask_b32_e32 v6, v9, v6, vcc
	v_and_b32_e32 v9, 7, v6
	v_cmp_lt_i32_e32 vcc, 5, v9
	v_cmp_eq_u32_e64 s[0:1], 3, v9
	v_lshrrev_b32_e32 v6, 2, v6
	s_or_b64 vcc, s[0:1], vcc
	v_addc_co_u32_e32 v9, vcc, 0, v6, vcc
	v_cvt_f64_f32_e32 v[6:7], v7
	v_cmp_gt_i32_e32 vcc, 31, v8
	v_cndmask_b32_e32 v9, v2, v9, vcc
	v_cmp_ne_u32_e32 vcc, 0, v0
	v_mul_f64 v[6:7], v[6:7], s[4:5]
	v_cndmask_b32_e64 v0, 0, 1, vcc
	v_lshl_or_b32 v0, v0, 9, v2
	v_cmp_eq_u32_e32 vcc, s10, v8
	v_cndmask_b32_e32 v0, v9, v0, vcc
	v_lshrrev_b32_e32 v1, 16, v1
	v_and_or_b32 v10, v1, s11, v0
	v_and_b32_e32 v10, 0xffff, v10
	v_and_or_b32 v0, v7, s6, v6
	v_cmp_ne_u32_e32 vcc, 0, v0
	v_cndmask_b32_e64 v0, 0, 1, vcc
	v_lshrrev_b32_e32 v1, 8, v7
	v_bfe_u32 v6, v7, 20, 11
	v_and_or_b32 v0, v1, s7, v0
	v_sub_u32_e32 v8, 0x3f1, v6
	v_or_b32_e32 v1, 0x1000, v0
	v_med3_i32 v8, v8, 0, 13
	v_lshrrev_b32_e32 v9, v8, v1
	v_lshlrev_b32_e32 v8, v8, v9
	v_cmp_ne_u32_e32 vcc, v8, v1
	v_cndmask_b32_e64 v1, 0, 1, vcc
	v_add_u32_e32 v6, 0xfffffc10, v6
	v_or_b32_e32 v1, v9, v1
	v_lshl_or_b32 v8, v6, 12, v0
	v_cmp_gt_i32_e32 vcc, 1, v6
	v_cndmask_b32_e32 v1, v8, v1, vcc
	v_and_b32_e32 v8, 7, v1
	v_cmp_lt_i32_e32 vcc, 5, v8
	v_cmp_eq_u32_e64 s[0:1], 3, v8
	v_lshrrev_b32_e32 v1, 2, v1
	s_or_b64 vcc, s[0:1], vcc
	v_addc_co_u32_e32 v1, vcc, 0, v1, vcc
	v_cmp_gt_i32_e32 vcc, 31, v6
	v_cndmask_b32_e32 v1, v2, v1, vcc
	v_cmp_ne_u32_e32 vcc, 0, v0
	v_cndmask_b32_e64 v0, 0, 1, vcc
	v_lshl_or_b32 v0, v0, 9, v2
	v_cmp_eq_u32_e32 vcc, s10, v6
	v_mad_u64_u32 v[8:9], s[0:1], s8, v62, 0
	v_cndmask_b32_e32 v11, v1, v0, vcc
	ds_read2_b32 v[0:1], v22 offset0:116 offset1:242
	v_mov_b32_e32 v6, v9
	v_lshrrev_b32_e32 v12, 16, v7
	v_mad_u64_u32 v[6:7], s[0:1], s9, v62, v[6:7]
	s_waitcnt lgkmcnt(0)
	v_lshrrev_b32_e32 v13, 16, v1
	v_mul_f16_sdwa v7, v61, v13 dst_sel:DWORD dst_unused:UNUSED_PAD src0_sel:WORD_1 src1_sel:DWORD
	v_fma_f16 v7, v61, v1, v7
	v_cvt_f32_f16_e32 v7, v7
	v_mov_b32_e32 v9, v6
	v_and_or_b32 v11, v12, s11, v11
	v_lshl_or_b32 v10, v11, 16, v10
	v_cvt_f64_f32_e32 v[6:7], v7
	v_mov_b32_e32 v11, s3
	v_add_co_u32_e32 v12, vcc, s2, v4
	v_mul_f64 v[6:7], v[6:7], s[4:5]
	v_addc_co_u32_e32 v11, vcc, v11, v5, vcc
	v_lshlrev_b64 v[4:5], 2, v[8:9]
	v_mul_f16_sdwa v1, v61, v1 dst_sel:DWORD dst_unused:UNUSED_PAD src0_sel:WORD_1 src1_sel:DWORD
	v_add_co_u32_e32 v4, vcc, v12, v4
	v_addc_co_u32_e32 v5, vcc, v11, v5, vcc
	v_and_or_b32 v6, v7, s6, v6
	v_cmp_ne_u32_e32 vcc, 0, v6
	v_cndmask_b32_e64 v6, 0, 1, vcc
	v_lshrrev_b32_e32 v8, 8, v7
	v_bfe_u32 v9, v7, 20, 11
	global_store_dword v[4:5], v10, off
	v_and_or_b32 v6, v8, s7, v6
	v_sub_u32_e32 v10, 0x3f1, v9
	v_or_b32_e32 v8, 0x1000, v6
	v_med3_i32 v10, v10, 0, 13
	v_lshrrev_b32_e32 v11, v10, v8
	v_lshlrev_b32_e32 v10, v10, v11
	v_cmp_ne_u32_e32 vcc, v10, v8
	v_fma_f16 v1, v61, v13, -v1
	v_cndmask_b32_e64 v8, 0, 1, vcc
	v_add_u32_e32 v10, 0xfffffc10, v9
	v_cvt_f32_f16_e32 v1, v1
	v_or_b32_e32 v8, v11, v8
	v_lshl_or_b32 v9, v10, 12, v6
	v_cmp_gt_i32_e32 vcc, 1, v10
	v_cndmask_b32_e32 v8, v9, v8, vcc
	v_and_b32_e32 v9, 7, v8
	v_cmp_lt_i32_e32 vcc, 5, v9
	v_cmp_eq_u32_e64 s[0:1], 3, v9
	v_lshrrev_b32_e32 v11, 2, v8
	v_cvt_f64_f32_e32 v[8:9], v1
	s_or_b64 vcc, s[0:1], vcc
	v_addc_co_u32_e32 v1, vcc, 0, v11, vcc
	v_mul_f64 v[8:9], v[8:9], s[4:5]
	v_cmp_gt_i32_e32 vcc, 31, v10
	v_cndmask_b32_e32 v1, v2, v1, vcc
	v_cmp_ne_u32_e32 vcc, 0, v6
	v_cndmask_b32_e64 v6, 0, 1, vcc
	v_lshl_or_b32 v6, v6, 9, v2
	v_cmp_eq_u32_e32 vcc, s10, v10
	v_cndmask_b32_e32 v1, v1, v6, vcc
	v_lshrrev_b32_e32 v6, 16, v7
	v_and_or_b32 v1, v6, s11, v1
	v_and_or_b32 v6, v9, s6, v8
	v_cmp_ne_u32_e32 vcc, 0, v6
	v_cndmask_b32_e64 v6, 0, 1, vcc
	v_lshrrev_b32_e32 v7, 8, v9
	v_bfe_u32 v8, v9, 20, 11
	v_and_or_b32 v6, v7, s7, v6
	v_sub_u32_e32 v10, 0x3f1, v8
	v_or_b32_e32 v7, 0x1000, v6
	v_med3_i32 v10, v10, 0, 13
	v_lshrrev_b32_e32 v11, v10, v7
	v_lshlrev_b32_e32 v10, v10, v11
	v_cmp_ne_u32_e32 vcc, v10, v7
	v_cndmask_b32_e64 v7, 0, 1, vcc
	v_add_u32_e32 v8, 0xfffffc10, v8
	v_or_b32_e32 v7, v11, v7
	v_lshl_or_b32 v10, v8, 12, v6
	v_cmp_gt_i32_e32 vcc, 1, v8
	v_cndmask_b32_e32 v7, v10, v7, vcc
	v_and_b32_e32 v10, 7, v7
	v_cmp_lt_i32_e32 vcc, 5, v10
	v_cmp_eq_u32_e64 s[0:1], 3, v10
	v_lshrrev_b32_e32 v7, 2, v7
	s_or_b64 vcc, s[0:1], vcc
	v_addc_co_u32_e32 v7, vcc, 0, v7, vcc
	v_cmp_gt_i32_e32 vcc, 31, v8
	v_cndmask_b32_e32 v7, v2, v7, vcc
	v_cmp_ne_u32_e32 vcc, 0, v6
	v_cndmask_b32_e64 v6, 0, 1, vcc
	v_lshl_or_b32 v6, v6, 9, v2
	v_cmp_eq_u32_e32 vcc, s10, v8
	v_lshrrev_b32_e32 v8, 16, v3
	v_cndmask_b32_e32 v6, v7, v6, vcc
	v_lshrrev_b32_e32 v7, 16, v9
	v_mul_f16_sdwa v9, v60, v8 dst_sel:DWORD dst_unused:UNUSED_PAD src0_sel:WORD_1 src1_sel:DWORD
	v_fma_f16 v9, v60, v3, v9
	v_cvt_f32_f16_e32 v9, v9
	v_and_or_b32 v6, v7, s11, v6
	v_and_b32_e32 v1, 0xffff, v1
	v_lshl_or_b32 v1, v6, 16, v1
	v_cvt_f64_f32_e32 v[6:7], v9
	s_mul_i32 s0, s9, 0xdc8
	s_mul_hi_u32 s2, s8, 0xdc8
	s_add_i32 s2, s2, s0
	v_mul_f64 v[6:7], v[6:7], s[4:5]
	s_mul_i32 s3, s8, 0xdc8
	v_mov_b32_e32 v9, s2
	v_add_co_u32_e32 v4, vcc, s3, v4
	v_addc_co_u32_e32 v5, vcc, v5, v9, vcc
	global_store_dword v[4:5], v1, off
	v_and_or_b32 v1, v7, s6, v6
	v_cmp_ne_u32_e32 vcc, 0, v1
	v_cndmask_b32_e64 v1, 0, 1, vcc
	v_lshrrev_b32_e32 v6, 8, v7
	v_bfe_u32 v9, v7, 20, 11
	v_and_or_b32 v1, v6, s7, v1
	v_sub_u32_e32 v10, 0x3f1, v9
	v_or_b32_e32 v6, 0x1000, v1
	v_med3_i32 v10, v10, 0, 13
	v_lshrrev_b32_e32 v11, v10, v6
	v_lshlrev_b32_e32 v10, v10, v11
	v_mul_f16_sdwa v3, v60, v3 dst_sel:DWORD dst_unused:UNUSED_PAD src0_sel:WORD_1 src1_sel:DWORD
	v_cmp_ne_u32_e32 vcc, v10, v6
	v_fma_f16 v3, v60, v8, -v3
	v_cndmask_b32_e64 v6, 0, 1, vcc
	v_add_u32_e32 v10, 0xfffffc10, v9
	v_cvt_f32_f16_e32 v3, v3
	v_or_b32_e32 v6, v11, v6
	v_lshl_or_b32 v9, v10, 12, v1
	v_cmp_gt_i32_e32 vcc, 1, v10
	v_cndmask_b32_e32 v6, v9, v6, vcc
	v_and_b32_e32 v9, 7, v6
	v_cmp_lt_i32_e32 vcc, 5, v9
	v_cmp_eq_u32_e64 s[0:1], 3, v9
	v_cvt_f64_f32_e32 v[8:9], v3
	v_lshrrev_b32_e32 v6, 2, v6
	s_or_b64 vcc, s[0:1], vcc
	v_addc_co_u32_e32 v3, vcc, 0, v6, vcc
	v_mul_f64 v[8:9], v[8:9], s[4:5]
	v_cmp_gt_i32_e32 vcc, 31, v10
	v_cndmask_b32_e32 v3, v2, v3, vcc
	v_cmp_ne_u32_e32 vcc, 0, v1
	v_cndmask_b32_e64 v1, 0, 1, vcc
	v_lshl_or_b32 v1, v1, 9, v2
	v_cmp_eq_u32_e32 vcc, s10, v10
	v_cndmask_b32_e32 v1, v3, v1, vcc
	v_lshrrev_b32_e32 v3, 16, v7
	v_and_or_b32 v1, v3, s11, v1
	v_and_or_b32 v3, v9, s6, v8
	v_cmp_ne_u32_e32 vcc, 0, v3
	v_cndmask_b32_e64 v3, 0, 1, vcc
	v_lshrrev_b32_e32 v6, 8, v9
	v_bfe_u32 v7, v9, 20, 11
	v_and_or_b32 v3, v6, s7, v3
	v_sub_u32_e32 v8, 0x3f1, v7
	v_or_b32_e32 v6, 0x1000, v3
	v_med3_i32 v8, v8, 0, 13
	v_lshrrev_b32_e32 v10, v8, v6
	v_lshlrev_b32_e32 v8, v8, v10
	v_cmp_ne_u32_e32 vcc, v8, v6
	v_cndmask_b32_e64 v6, 0, 1, vcc
	v_add_u32_e32 v8, 0xfffffc10, v7
	v_or_b32_e32 v6, v10, v6
	v_lshl_or_b32 v7, v8, 12, v3
	v_cmp_gt_i32_e32 vcc, 1, v8
	v_cndmask_b32_e32 v6, v7, v6, vcc
	v_and_b32_e32 v7, 7, v6
	v_cmp_lt_i32_e32 vcc, 5, v7
	v_cmp_eq_u32_e64 s[0:1], 3, v7
	v_lshrrev_b32_e32 v6, 2, v6
	s_or_b64 vcc, s[0:1], vcc
	v_addc_co_u32_e32 v6, vcc, 0, v6, vcc
	v_cmp_gt_i32_e32 vcc, 31, v8
	v_cndmask_b32_e32 v10, v2, v6, vcc
	ds_read2_b32 v[6:7], v21 offset0:112 offset1:238
	v_cmp_ne_u32_e32 vcc, 0, v3
	v_cndmask_b32_e64 v3, 0, 1, vcc
	v_lshl_or_b32 v3, v3, 9, v2
	v_cmp_eq_u32_e32 vcc, s10, v8
	v_cndmask_b32_e32 v3, v10, v3, vcc
	v_lshrrev_b32_e32 v8, 16, v9
	s_waitcnt lgkmcnt(0)
	v_lshrrev_b32_e32 v10, 16, v6
	v_and_or_b32 v3, v8, s11, v3
	v_mul_f16_sdwa v8, v59, v10 dst_sel:DWORD dst_unused:UNUSED_PAD src0_sel:WORD_1 src1_sel:DWORD
	v_fma_f16 v8, v59, v6, v8
	v_cvt_f32_f16_e32 v8, v8
	s_mul_hi_u32 s1, s8, 0xfffff430
	s_mul_i32 s0, s9, 0xfffff430
	s_sub_i32 s9, s1, s8
	v_cvt_f64_f32_e32 v[8:9], v8
	v_and_b32_e32 v1, 0xffff, v1
	s_add_i32 s9, s9, s0
	s_mulk_i32 s8, 0xf430
	v_mul_f64 v[8:9], v[8:9], s[4:5]
	v_lshl_or_b32 v1, v3, 16, v1
	v_mov_b32_e32 v11, s9
	v_add_co_u32_e32 v3, vcc, s8, v4
	v_addc_co_u32_e32 v4, vcc, v5, v11, vcc
	global_store_dword v[3:4], v1, off
	v_and_or_b32 v1, v9, s6, v8
	v_cmp_ne_u32_e32 vcc, 0, v1
	v_cndmask_b32_e64 v1, 0, 1, vcc
	v_lshrrev_b32_e32 v5, 8, v9
	v_bfe_u32 v8, v9, 20, 11
	v_and_or_b32 v1, v5, s7, v1
	v_sub_u32_e32 v11, 0x3f1, v8
	v_or_b32_e32 v5, 0x1000, v1
	v_med3_i32 v11, v11, 0, 13
	v_lshrrev_b32_e32 v12, v11, v5
	v_mul_f16_sdwa v6, v59, v6 dst_sel:DWORD dst_unused:UNUSED_PAD src0_sel:WORD_1 src1_sel:DWORD
	v_lshlrev_b32_e32 v11, v11, v12
	v_fma_f16 v6, v59, v10, -v6
	v_cmp_ne_u32_e32 vcc, v11, v5
	v_cvt_f32_f16_e32 v6, v6
	v_cndmask_b32_e64 v5, 0, 1, vcc
	v_add_u32_e32 v8, 0xfffffc10, v8
	v_or_b32_e32 v5, v12, v5
	v_lshl_or_b32 v11, v8, 12, v1
	v_cmp_gt_i32_e32 vcc, 1, v8
	v_cndmask_b32_e32 v5, v11, v5, vcc
	v_and_b32_e32 v11, 7, v5
	v_lshrrev_b32_e32 v10, 2, v5
	v_cvt_f64_f32_e32 v[5:6], v6
	v_cmp_lt_i32_e32 vcc, 5, v11
	v_cmp_eq_u32_e64 s[0:1], 3, v11
	s_or_b64 vcc, s[0:1], vcc
	v_mul_f64 v[5:6], v[5:6], s[4:5]
	v_addc_co_u32_e32 v10, vcc, 0, v10, vcc
	v_cmp_gt_i32_e32 vcc, 31, v8
	v_cndmask_b32_e32 v10, v2, v10, vcc
	v_cmp_ne_u32_e32 vcc, 0, v1
	v_cndmask_b32_e64 v1, 0, 1, vcc
	v_lshl_or_b32 v1, v1, 9, v2
	v_cmp_eq_u32_e32 vcc, s10, v8
	v_and_or_b32 v5, v6, s6, v5
	v_cndmask_b32_e32 v1, v10, v1, vcc
	v_lshrrev_b32_e32 v8, 16, v9
	v_cmp_ne_u32_e32 vcc, 0, v5
	v_and_or_b32 v1, v8, s11, v1
	v_cndmask_b32_e64 v5, 0, 1, vcc
	v_lshrrev_b32_e32 v8, 8, v6
	v_bfe_u32 v9, v6, 20, 11
	v_and_or_b32 v5, v8, s7, v5
	v_sub_u32_e32 v10, 0x3f1, v9
	v_or_b32_e32 v8, 0x1000, v5
	v_med3_i32 v10, v10, 0, 13
	v_lshrrev_b32_e32 v11, v10, v8
	v_lshlrev_b32_e32 v10, v10, v11
	v_cmp_ne_u32_e32 vcc, v10, v8
	v_cndmask_b32_e64 v8, 0, 1, vcc
	v_add_u32_e32 v10, 0xfffffc10, v9
	v_or_b32_e32 v8, v11, v8
	v_lshl_or_b32 v9, v10, 12, v5
	v_cmp_gt_i32_e32 vcc, 1, v10
	v_cndmask_b32_e32 v8, v9, v8, vcc
	v_and_b32_e32 v9, 7, v8
	v_cmp_lt_i32_e32 vcc, 5, v9
	v_cmp_eq_u32_e64 s[0:1], 3, v9
	v_lshrrev_b32_e32 v8, 2, v8
	s_or_b64 vcc, s[0:1], vcc
	v_addc_co_u32_e32 v11, vcc, 0, v8, vcc
	ds_read2_b32 v[8:9], v20 offset0:124 offset1:250
	v_cmp_gt_i32_e32 vcc, 31, v10
	v_cndmask_b32_e32 v11, v2, v11, vcc
	v_cmp_ne_u32_e32 vcc, 0, v5
	v_cndmask_b32_e64 v5, 0, 1, vcc
	s_waitcnt lgkmcnt(0)
	v_lshrrev_b32_e32 v12, 16, v8
	v_mul_f16_sdwa v13, v57, v12 dst_sel:DWORD dst_unused:UNUSED_PAD src0_sel:WORD_1 src1_sel:DWORD
	v_fma_f16 v13, v57, v8, v13
	v_cvt_f32_f16_e32 v13, v13
	v_lshl_or_b32 v5, v5, 9, v2
	v_cmp_eq_u32_e32 vcc, s10, v10
	v_cndmask_b32_e32 v5, v11, v5, vcc
	v_cvt_f64_f32_e32 v[10:11], v13
	v_lshrrev_b32_e32 v6, 16, v6
	v_and_or_b32 v13, v6, s11, v5
	v_and_b32_e32 v1, 0xffff, v1
	v_mul_f64 v[5:6], v[10:11], s[4:5]
	v_mov_b32_e32 v10, s2
	v_add_co_u32_e32 v3, vcc, s3, v3
	v_lshl_or_b32 v1, v13, 16, v1
	v_addc_co_u32_e32 v4, vcc, v4, v10, vcc
	global_store_dword v[3:4], v1, off
	v_and_or_b32 v1, v6, s6, v5
	v_cmp_ne_u32_e32 vcc, 0, v1
	v_cndmask_b32_e64 v1, 0, 1, vcc
	v_lshrrev_b32_e32 v5, 8, v6
	v_bfe_u32 v10, v6, 20, 11
	v_and_or_b32 v1, v5, s7, v1
	v_sub_u32_e32 v11, 0x3f1, v10
	v_or_b32_e32 v5, 0x1000, v1
	v_med3_i32 v11, v11, 0, 13
	v_lshrrev_b32_e32 v13, v11, v5
	v_lshlrev_b32_e32 v11, v11, v13
	v_cmp_ne_u32_e32 vcc, v11, v5
	v_mul_f16_sdwa v8, v57, v8 dst_sel:DWORD dst_unused:UNUSED_PAD src0_sel:WORD_1 src1_sel:DWORD
	v_cndmask_b32_e64 v5, 0, 1, vcc
	v_fma_f16 v8, v57, v12, -v8
	v_or_b32_e32 v5, v13, v5
	v_add_u32_e32 v13, 0xfffffc10, v10
	v_cvt_f32_f16_e32 v8, v8
	v_lshl_or_b32 v10, v13, 12, v1
	v_cmp_gt_i32_e32 vcc, 1, v13
	v_cndmask_b32_e32 v5, v10, v5, vcc
	v_and_b32_e32 v10, 7, v5
	v_cmp_lt_i32_e32 vcc, 5, v10
	v_cmp_eq_u32_e64 s[0:1], 3, v10
	v_cvt_f64_f32_e32 v[10:11], v8
	v_lshrrev_b32_e32 v5, 2, v5
	s_or_b64 vcc, s[0:1], vcc
	v_addc_co_u32_e32 v5, vcc, 0, v5, vcc
	v_mul_f64 v[10:11], v[10:11], s[4:5]
	v_cmp_gt_i32_e32 vcc, 31, v13
	v_cndmask_b32_e32 v5, v2, v5, vcc
	v_cmp_ne_u32_e32 vcc, 0, v1
	v_cndmask_b32_e64 v1, 0, 1, vcc
	v_lshl_or_b32 v1, v1, 9, v2
	v_cmp_eq_u32_e32 vcc, s10, v13
	v_cndmask_b32_e32 v1, v5, v1, vcc
	v_lshrrev_b32_e32 v5, 16, v6
	v_and_or_b32 v1, v5, s11, v1
	v_and_or_b32 v5, v11, s6, v10
	v_cmp_ne_u32_e32 vcc, 0, v5
	v_cndmask_b32_e64 v5, 0, 1, vcc
	v_lshrrev_b32_e32 v6, 8, v11
	v_bfe_u32 v8, v11, 20, 11
	v_and_or_b32 v5, v6, s7, v5
	v_sub_u32_e32 v10, 0x3f1, v8
	v_or_b32_e32 v6, 0x1000, v5
	v_med3_i32 v10, v10, 0, 13
	v_lshrrev_b32_e32 v12, v10, v6
	v_lshlrev_b32_e32 v10, v10, v12
	v_cmp_ne_u32_e32 vcc, v10, v6
	v_cndmask_b32_e64 v6, 0, 1, vcc
	v_add_u32_e32 v8, 0xfffffc10, v8
	v_or_b32_e32 v6, v12, v6
	v_lshl_or_b32 v10, v8, 12, v5
	v_cmp_gt_i32_e32 vcc, 1, v8
	v_cndmask_b32_e32 v6, v10, v6, vcc
	v_and_b32_e32 v10, 7, v6
	v_cmp_lt_i32_e32 vcc, 5, v10
	v_cmp_eq_u32_e64 s[0:1], 3, v10
	v_lshrrev_b32_e32 v10, 16, v7
	v_lshrrev_b32_e32 v6, 2, v6
	s_or_b64 vcc, s[0:1], vcc
	v_mul_f16_sdwa v12, v58, v10 dst_sel:DWORD dst_unused:UNUSED_PAD src0_sel:WORD_1 src1_sel:DWORD
	v_addc_co_u32_e32 v6, vcc, 0, v6, vcc
	v_fma_f16 v12, v58, v7, v12
	v_cmp_gt_i32_e32 vcc, 31, v8
	v_cvt_f32_f16_e32 v12, v12
	v_cndmask_b32_e32 v6, v2, v6, vcc
	v_cmp_ne_u32_e32 vcc, 0, v5
	v_cndmask_b32_e64 v5, 0, 1, vcc
	v_lshl_or_b32 v5, v5, 9, v2
	v_cmp_eq_u32_e32 vcc, s10, v8
	v_cndmask_b32_e32 v8, v6, v5, vcc
	v_cvt_f64_f32_e32 v[5:6], v12
	v_lshrrev_b32_e32 v11, 16, v11
	v_and_or_b32 v8, v11, s11, v8
	v_and_b32_e32 v1, 0xffff, v1
	v_mul_f64 v[5:6], v[5:6], s[4:5]
	v_lshl_or_b32 v1, v8, 16, v1
	v_mov_b32_e32 v8, s9
	v_add_co_u32_e32 v3, vcc, s8, v3
	v_addc_co_u32_e32 v4, vcc, v4, v8, vcc
	global_store_dword v[3:4], v1, off
	v_and_or_b32 v1, v6, s6, v5
	v_cmp_ne_u32_e32 vcc, 0, v1
	v_cndmask_b32_e64 v1, 0, 1, vcc
	v_lshrrev_b32_e32 v5, 8, v6
	v_bfe_u32 v8, v6, 20, 11
	v_and_or_b32 v1, v5, s7, v1
	v_sub_u32_e32 v11, 0x3f1, v8
	v_or_b32_e32 v5, 0x1000, v1
	v_med3_i32 v11, v11, 0, 13
	v_lshrrev_b32_e32 v12, v11, v5
	v_lshlrev_b32_e32 v11, v11, v12
	v_mul_f16_sdwa v7, v58, v7 dst_sel:DWORD dst_unused:UNUSED_PAD src0_sel:WORD_1 src1_sel:DWORD
	v_cmp_ne_u32_e32 vcc, v11, v5
	v_fma_f16 v7, v58, v10, -v7
	v_cndmask_b32_e64 v5, 0, 1, vcc
	v_add_u32_e32 v11, 0xfffffc10, v8
	v_cvt_f32_f16_e32 v7, v7
	v_or_b32_e32 v5, v12, v5
	v_lshl_or_b32 v8, v11, 12, v1
	v_cmp_gt_i32_e32 vcc, 1, v11
	v_cndmask_b32_e32 v5, v8, v5, vcc
	v_and_b32_e32 v8, 7, v5
	v_cmp_lt_i32_e32 vcc, 5, v8
	v_cmp_eq_u32_e64 s[0:1], 3, v8
	v_cvt_f64_f32_e32 v[7:8], v7
	v_lshrrev_b32_e32 v5, 2, v5
	s_or_b64 vcc, s[0:1], vcc
	v_addc_co_u32_e32 v5, vcc, 0, v5, vcc
	v_mul_f64 v[7:8], v[7:8], s[4:5]
	v_cmp_gt_i32_e32 vcc, 31, v11
	v_cndmask_b32_e32 v5, v2, v5, vcc
	v_cmp_ne_u32_e32 vcc, 0, v1
	v_cndmask_b32_e64 v1, 0, 1, vcc
	v_lshl_or_b32 v1, v1, 9, v2
	v_cmp_eq_u32_e32 vcc, s10, v11
	v_cndmask_b32_e32 v1, v5, v1, vcc
	v_lshrrev_b32_e32 v5, 16, v6
	v_and_or_b32 v1, v5, s11, v1
	v_and_or_b32 v5, v8, s6, v7
	v_cmp_ne_u32_e32 vcc, 0, v5
	v_cndmask_b32_e64 v5, 0, 1, vcc
	v_lshrrev_b32_e32 v6, 8, v8
	v_bfe_u32 v7, v8, 20, 11
	v_and_or_b32 v5, v6, s7, v5
	v_sub_u32_e32 v10, 0x3f1, v7
	v_or_b32_e32 v6, 0x1000, v5
	v_med3_i32 v10, v10, 0, 13
	v_lshrrev_b32_e32 v11, v10, v6
	v_lshlrev_b32_e32 v10, v10, v11
	v_cmp_ne_u32_e32 vcc, v10, v6
	v_cndmask_b32_e64 v6, 0, 1, vcc
	v_add_u32_e32 v7, 0xfffffc10, v7
	v_or_b32_e32 v6, v11, v6
	v_lshl_or_b32 v10, v7, 12, v5
	v_cmp_gt_i32_e32 vcc, 1, v7
	v_cndmask_b32_e32 v6, v10, v6, vcc
	v_and_b32_e32 v10, 7, v6
	v_cmp_lt_i32_e32 vcc, 5, v10
	v_cmp_eq_u32_e64 s[0:1], 3, v10
	v_lshrrev_b32_e32 v10, 16, v9
	v_lshrrev_b32_e32 v6, 2, v6
	s_or_b64 vcc, s[0:1], vcc
	v_mul_f16_sdwa v11, v55, v10 dst_sel:DWORD dst_unused:UNUSED_PAD src0_sel:WORD_1 src1_sel:DWORD
	v_addc_co_u32_e32 v6, vcc, 0, v6, vcc
	v_fma_f16 v11, v55, v9, v11
	v_cmp_gt_i32_e32 vcc, 31, v7
	v_cvt_f32_f16_e32 v11, v11
	v_cndmask_b32_e32 v6, v2, v6, vcc
	v_cmp_ne_u32_e32 vcc, 0, v5
	v_cndmask_b32_e64 v5, 0, 1, vcc
	v_lshl_or_b32 v5, v5, 9, v2
	v_cmp_eq_u32_e32 vcc, s10, v7
	v_cndmask_b32_e32 v7, v6, v5, vcc
	v_cvt_f64_f32_e32 v[5:6], v11
	v_lshrrev_b32_e32 v8, 16, v8
	v_and_or_b32 v7, v8, s11, v7
	v_and_b32_e32 v1, 0xffff, v1
	v_mul_f64 v[5:6], v[5:6], s[4:5]
	v_lshl_or_b32 v1, v7, 16, v1
	v_mov_b32_e32 v7, s2
	v_add_co_u32_e32 v3, vcc, s3, v3
	v_addc_co_u32_e32 v4, vcc, v4, v7, vcc
	global_store_dword v[3:4], v1, off
	v_and_or_b32 v1, v6, s6, v5
	v_cmp_ne_u32_e32 vcc, 0, v1
	v_cndmask_b32_e64 v1, 0, 1, vcc
	v_lshrrev_b32_e32 v5, 8, v6
	v_bfe_u32 v7, v6, 20, 11
	v_and_or_b32 v1, v5, s7, v1
	v_sub_u32_e32 v8, 0x3f1, v7
	v_or_b32_e32 v5, 0x1000, v1
	v_med3_i32 v8, v8, 0, 13
	v_lshrrev_b32_e32 v11, v8, v5
	v_lshlrev_b32_e32 v8, v8, v11
	v_cmp_ne_u32_e32 vcc, v8, v5
	v_mul_f16_sdwa v8, v55, v9 dst_sel:DWORD dst_unused:UNUSED_PAD src0_sel:WORD_1 src1_sel:DWORD
	v_cndmask_b32_e64 v5, 0, 1, vcc
	v_fma_f16 v8, v55, v10, -v8
	v_or_b32_e32 v5, v11, v5
	v_add_u32_e32 v11, 0xfffffc10, v7
	v_cvt_f32_f16_e32 v8, v8
	v_lshl_or_b32 v7, v11, 12, v1
	v_cmp_gt_i32_e32 vcc, 1, v11
	v_cndmask_b32_e32 v5, v7, v5, vcc
	v_and_b32_e32 v7, 7, v5
	v_cmp_lt_i32_e32 vcc, 5, v7
	v_cmp_eq_u32_e64 s[0:1], 3, v7
	v_cvt_f64_f32_e32 v[7:8], v8
	v_lshrrev_b32_e32 v5, 2, v5
	s_or_b64 vcc, s[0:1], vcc
	v_addc_co_u32_e32 v5, vcc, 0, v5, vcc
	v_mul_f64 v[7:8], v[7:8], s[4:5]
	v_cmp_gt_i32_e32 vcc, 31, v11
	v_cndmask_b32_e32 v5, v2, v5, vcc
	v_cmp_ne_u32_e32 vcc, 0, v1
	v_cndmask_b32_e64 v1, 0, 1, vcc
	v_lshl_or_b32 v1, v1, 9, v2
	v_cmp_eq_u32_e32 vcc, s10, v11
	v_cndmask_b32_e32 v1, v5, v1, vcc
	v_lshrrev_b32_e32 v5, 16, v6
	v_and_or_b32 v1, v5, s11, v1
	v_and_or_b32 v5, v8, s6, v7
	v_cmp_ne_u32_e32 vcc, 0, v5
	v_cndmask_b32_e64 v5, 0, 1, vcc
	v_lshrrev_b32_e32 v6, 8, v8
	v_and_or_b32 v7, v6, s7, v5
	v_bfe_u32 v6, v8, 20, 11
	v_sub_u32_e32 v9, 0x3f1, v6
	v_or_b32_e32 v5, 0x1000, v7
	v_med3_i32 v9, v9, 0, 13
	v_lshrrev_b32_e32 v10, v9, v5
	v_lshlrev_b32_e32 v9, v9, v10
	v_cmp_ne_u32_e32 vcc, v9, v5
	v_cndmask_b32_e64 v5, 0, 1, vcc
	v_add_u32_e32 v9, 0xfffffc10, v6
	v_or_b32_e32 v5, v10, v5
	v_lshl_or_b32 v6, v9, 12, v7
	v_cmp_gt_i32_e32 vcc, 1, v9
	v_cndmask_b32_e32 v5, v6, v5, vcc
	v_and_b32_e32 v6, 7, v5
	v_cmp_lt_i32_e32 vcc, 5, v6
	v_cmp_eq_u32_e64 s[0:1], 3, v6
	v_lshrrev_b32_e32 v5, 2, v5
	s_or_b64 vcc, s[0:1], vcc
	v_addc_co_u32_e32 v10, vcc, 0, v5, vcc
	ds_read2_b32 v[5:6], v19 offset0:108 offset1:234
	v_cmp_gt_i32_e32 vcc, 31, v9
	v_cndmask_b32_e32 v10, v2, v10, vcc
	v_cmp_ne_u32_e32 vcc, 0, v7
	v_cndmask_b32_e64 v7, 0, 1, vcc
	s_waitcnt lgkmcnt(0)
	v_lshrrev_b32_e32 v11, 16, v5
	v_mul_f16_sdwa v12, v56, v11 dst_sel:DWORD dst_unused:UNUSED_PAD src0_sel:WORD_1 src1_sel:DWORD
	v_fma_f16 v12, v56, v5, v12
	v_cvt_f32_f16_e32 v12, v12
	v_lshl_or_b32 v7, v7, 9, v2
	v_cmp_eq_u32_e32 vcc, s10, v9
	v_cndmask_b32_e32 v7, v10, v7, vcc
	v_cvt_f64_f32_e32 v[9:10], v12
	v_lshrrev_b32_e32 v8, 16, v8
	v_and_or_b32 v12, v8, s11, v7
	v_and_b32_e32 v1, 0xffff, v1
	v_mul_f64 v[7:8], v[9:10], s[4:5]
	v_mov_b32_e32 v9, s9
	v_add_co_u32_e32 v3, vcc, s8, v3
	v_lshl_or_b32 v1, v12, 16, v1
	v_addc_co_u32_e32 v4, vcc, v4, v9, vcc
	global_store_dword v[3:4], v1, off
	v_and_or_b32 v1, v8, s6, v7
	v_cmp_ne_u32_e32 vcc, 0, v1
	v_cndmask_b32_e64 v1, 0, 1, vcc
	v_lshrrev_b32_e32 v7, 8, v8
	v_bfe_u32 v9, v8, 20, 11
	v_and_or_b32 v1, v7, s7, v1
	v_sub_u32_e32 v10, 0x3f1, v9
	v_or_b32_e32 v7, 0x1000, v1
	v_med3_i32 v10, v10, 0, 13
	v_lshrrev_b32_e32 v12, v10, v7
	v_lshlrev_b32_e32 v10, v10, v12
	v_cmp_ne_u32_e32 vcc, v10, v7
	v_mul_f16_sdwa v5, v56, v5 dst_sel:DWORD dst_unused:UNUSED_PAD src0_sel:WORD_1 src1_sel:DWORD
	v_cndmask_b32_e64 v7, 0, 1, vcc
	v_fma_f16 v5, v56, v11, -v5
	v_or_b32_e32 v7, v12, v7
	v_add_u32_e32 v12, 0xfffffc10, v9
	v_cvt_f32_f16_e32 v5, v5
	v_lshl_or_b32 v9, v12, 12, v1
	v_cmp_gt_i32_e32 vcc, 1, v12
	v_cndmask_b32_e32 v7, v9, v7, vcc
	v_and_b32_e32 v9, 7, v7
	v_cmp_lt_i32_e32 vcc, 5, v9
	v_cmp_eq_u32_e64 s[0:1], 3, v9
	v_cvt_f64_f32_e32 v[9:10], v5
	v_lshrrev_b32_e32 v7, 2, v7
	s_or_b64 vcc, s[0:1], vcc
	v_addc_co_u32_e32 v5, vcc, 0, v7, vcc
	v_mul_f64 v[9:10], v[9:10], s[4:5]
	v_cmp_gt_i32_e32 vcc, 31, v12
	v_cndmask_b32_e32 v5, v2, v5, vcc
	v_cmp_ne_u32_e32 vcc, 0, v1
	v_cndmask_b32_e64 v1, 0, 1, vcc
	v_lshl_or_b32 v1, v1, 9, v2
	v_cmp_eq_u32_e32 vcc, s10, v12
	v_cndmask_b32_e32 v1, v5, v1, vcc
	v_lshrrev_b32_e32 v5, 16, v8
	v_and_or_b32 v1, v5, s11, v1
	v_and_or_b32 v5, v10, s6, v9
	v_cmp_ne_u32_e32 vcc, 0, v5
	v_cndmask_b32_e64 v5, 0, 1, vcc
	v_lshrrev_b32_e32 v7, 8, v10
	v_bfe_u32 v8, v10, 20, 11
	v_and_or_b32 v5, v7, s7, v5
	v_sub_u32_e32 v9, 0x3f1, v8
	v_or_b32_e32 v7, 0x1000, v5
	v_med3_i32 v9, v9, 0, 13
	v_lshrrev_b32_e32 v11, v9, v7
	v_lshlrev_b32_e32 v9, v9, v11
	v_cmp_ne_u32_e32 vcc, v9, v7
	v_cndmask_b32_e64 v7, 0, 1, vcc
	v_add_u32_e32 v9, 0xfffffc10, v8
	v_or_b32_e32 v7, v11, v7
	v_lshl_or_b32 v8, v9, 12, v5
	v_cmp_gt_i32_e32 vcc, 1, v9
	v_cndmask_b32_e32 v7, v8, v7, vcc
	v_and_b32_e32 v8, 7, v7
	v_cmp_lt_i32_e32 vcc, 5, v8
	v_cmp_eq_u32_e64 s[0:1], 3, v8
	v_lshrrev_b32_e32 v7, 2, v7
	s_or_b64 vcc, s[0:1], vcc
	v_addc_co_u32_e32 v11, vcc, 0, v7, vcc
	ds_read2_b32 v[7:8], v18 offset0:120 offset1:246
	v_cmp_gt_i32_e32 vcc, 31, v9
	v_cndmask_b32_e32 v11, v2, v11, vcc
	v_cmp_ne_u32_e32 vcc, 0, v5
	v_cndmask_b32_e64 v5, 0, 1, vcc
	s_waitcnt lgkmcnt(0)
	v_lshrrev_b32_e32 v13, 16, v7
	v_mul_f16_sdwa v12, v53, v13 dst_sel:DWORD dst_unused:UNUSED_PAD src0_sel:WORD_1 src1_sel:DWORD
	v_fma_f16 v12, v53, v7, v12
	v_cvt_f32_f16_e32 v12, v12
	v_lshl_or_b32 v5, v5, 9, v2
	v_cmp_eq_u32_e32 vcc, s10, v9
	v_cndmask_b32_e32 v5, v11, v5, vcc
	v_cvt_f64_f32_e32 v[11:12], v12
	v_lshrrev_b32_e32 v9, 16, v10
	v_and_or_b32 v5, v9, s11, v5
	v_and_b32_e32 v1, 0xffff, v1
	v_mul_f64 v[9:10], v[11:12], s[4:5]
	v_lshl_or_b32 v1, v5, 16, v1
	v_mov_b32_e32 v5, s2
	v_add_co_u32_e32 v3, vcc, s3, v3
	v_addc_co_u32_e32 v4, vcc, v4, v5, vcc
	global_store_dword v[3:4], v1, off
	v_and_or_b32 v1, v10, s6, v9
	v_cmp_ne_u32_e32 vcc, 0, v1
	v_cndmask_b32_e64 v1, 0, 1, vcc
	v_lshrrev_b32_e32 v5, 8, v10
	v_bfe_u32 v9, v10, 20, 11
	v_and_or_b32 v1, v5, s7, v1
	v_sub_u32_e32 v11, 0x3f1, v9
	v_or_b32_e32 v5, 0x1000, v1
	v_med3_i32 v11, v11, 0, 13
	v_lshrrev_b32_e32 v12, v11, v5
	v_lshlrev_b32_e32 v11, v11, v12
	v_mul_f16_sdwa v7, v53, v7 dst_sel:DWORD dst_unused:UNUSED_PAD src0_sel:WORD_1 src1_sel:DWORD
	v_cmp_ne_u32_e32 vcc, v11, v5
	v_fma_f16 v7, v53, v13, -v7
	v_cndmask_b32_e64 v5, 0, 1, vcc
	v_add_u32_e32 v9, 0xfffffc10, v9
	v_cvt_f32_f16_e32 v7, v7
	v_or_b32_e32 v5, v12, v5
	v_lshl_or_b32 v11, v9, 12, v1
	v_cmp_gt_i32_e32 vcc, 1, v9
	v_cndmask_b32_e32 v5, v11, v5, vcc
	v_and_b32_e32 v11, 7, v5
	v_cmp_lt_i32_e32 vcc, 5, v11
	v_cmp_eq_u32_e64 s[0:1], 3, v11
	v_cvt_f64_f32_e32 v[11:12], v7
	v_lshrrev_b32_e32 v5, 2, v5
	s_or_b64 vcc, s[0:1], vcc
	v_addc_co_u32_e32 v5, vcc, 0, v5, vcc
	v_mul_f64 v[11:12], v[11:12], s[4:5]
	v_cmp_gt_i32_e32 vcc, 31, v9
	v_cndmask_b32_e32 v5, v2, v5, vcc
	v_cmp_ne_u32_e32 vcc, 0, v1
	v_cndmask_b32_e64 v1, 0, 1, vcc
	v_lshl_or_b32 v1, v1, 9, v2
	v_cmp_eq_u32_e32 vcc, s10, v9
	v_cndmask_b32_e32 v1, v5, v1, vcc
	v_lshrrev_b32_e32 v5, 16, v10
	v_and_or_b32 v1, v5, s11, v1
	v_and_or_b32 v5, v12, s6, v11
	v_cmp_ne_u32_e32 vcc, 0, v5
	v_cndmask_b32_e64 v5, 0, 1, vcc
	v_lshrrev_b32_e32 v7, 8, v12
	v_bfe_u32 v9, v12, 20, 11
	v_and_or_b32 v5, v7, s7, v5
	v_sub_u32_e32 v10, 0x3f1, v9
	v_or_b32_e32 v7, 0x1000, v5
	v_med3_i32 v10, v10, 0, 13
	v_lshrrev_b32_e32 v11, v10, v7
	v_lshlrev_b32_e32 v10, v10, v11
	v_cmp_ne_u32_e32 vcc, v10, v7
	v_cndmask_b32_e64 v7, 0, 1, vcc
	v_add_u32_e32 v9, 0xfffffc10, v9
	v_or_b32_e32 v7, v11, v7
	v_lshl_or_b32 v10, v9, 12, v5
	v_cmp_gt_i32_e32 vcc, 1, v9
	v_cndmask_b32_e32 v7, v10, v7, vcc
	v_and_b32_e32 v10, 7, v7
	v_lshrrev_b32_e32 v11, 16, v6
	v_cmp_lt_i32_e32 vcc, 5, v10
	v_cmp_eq_u32_e64 s[0:1], 3, v10
	v_mul_f16_sdwa v10, v54, v11 dst_sel:DWORD dst_unused:UNUSED_PAD src0_sel:WORD_1 src1_sel:DWORD
	v_fma_f16 v10, v54, v6, v10
	v_lshrrev_b32_e32 v7, 2, v7
	s_or_b64 vcc, s[0:1], vcc
	v_cvt_f32_f16_e32 v10, v10
	v_addc_co_u32_e32 v7, vcc, 0, v7, vcc
	v_cmp_gt_i32_e32 vcc, 31, v9
	v_cndmask_b32_e32 v7, v2, v7, vcc
	v_cmp_ne_u32_e32 vcc, 0, v5
	v_cndmask_b32_e64 v5, 0, 1, vcc
	v_cmp_eq_u32_e32 vcc, s10, v9
	v_cvt_f64_f32_e32 v[9:10], v10
	v_lshl_or_b32 v5, v5, 9, v2
	v_cndmask_b32_e32 v5, v7, v5, vcc
	v_lshrrev_b32_e32 v7, 16, v12
	v_mul_f64 v[9:10], v[9:10], s[4:5]
	v_and_or_b32 v5, v7, s11, v5
	v_and_b32_e32 v1, 0xffff, v1
	v_lshl_or_b32 v1, v5, 16, v1
	v_mov_b32_e32 v5, s9
	v_add_co_u32_e32 v3, vcc, s8, v3
	v_addc_co_u32_e32 v4, vcc, v4, v5, vcc
	global_store_dword v[3:4], v1, off
	v_and_or_b32 v1, v10, s6, v9
	v_cmp_ne_u32_e32 vcc, 0, v1
	v_cndmask_b32_e64 v1, 0, 1, vcc
	v_lshrrev_b32_e32 v5, 8, v10
	v_bfe_u32 v7, v10, 20, 11
	v_and_or_b32 v1, v5, s7, v1
	v_sub_u32_e32 v9, 0x3f1, v7
	v_or_b32_e32 v5, 0x1000, v1
	v_med3_i32 v9, v9, 0, 13
	v_lshrrev_b32_e32 v12, v9, v5
	v_lshlrev_b32_e32 v9, v9, v12
	v_mul_f16_sdwa v6, v54, v6 dst_sel:DWORD dst_unused:UNUSED_PAD src0_sel:WORD_1 src1_sel:DWORD
	v_cmp_ne_u32_e32 vcc, v9, v5
	v_fma_f16 v6, v54, v11, -v6
	v_cndmask_b32_e64 v5, 0, 1, vcc
	v_add_u32_e32 v7, 0xfffffc10, v7
	v_cvt_f32_f16_e32 v6, v6
	v_or_b32_e32 v5, v12, v5
	v_lshl_or_b32 v9, v7, 12, v1
	v_cmp_gt_i32_e32 vcc, 1, v7
	v_cndmask_b32_e32 v5, v9, v5, vcc
	v_and_b32_e32 v9, 7, v5
	v_cmp_lt_i32_e32 vcc, 5, v9
	v_cmp_eq_u32_e64 s[0:1], 3, v9
	v_lshrrev_b32_e32 v9, 2, v5
	v_cvt_f64_f32_e32 v[5:6], v6
	s_or_b64 vcc, s[0:1], vcc
	v_addc_co_u32_e32 v9, vcc, 0, v9, vcc
	v_mul_f64 v[5:6], v[5:6], s[4:5]
	v_cmp_gt_i32_e32 vcc, 31, v7
	v_cndmask_b32_e32 v9, v2, v9, vcc
	v_cmp_ne_u32_e32 vcc, 0, v1
	v_cndmask_b32_e64 v1, 0, 1, vcc
	v_lshl_or_b32 v1, v1, 9, v2
	v_cmp_eq_u32_e32 vcc, s10, v7
	v_cndmask_b32_e32 v1, v9, v1, vcc
	v_and_or_b32 v5, v6, s6, v5
	v_lshrrev_b32_e32 v7, 16, v10
	v_cmp_ne_u32_e32 vcc, 0, v5
	v_and_or_b32 v1, v7, s11, v1
	v_cndmask_b32_e64 v5, 0, 1, vcc
	v_lshrrev_b32_e32 v7, 8, v6
	v_bfe_u32 v9, v6, 20, 11
	v_and_or_b32 v5, v7, s7, v5
	v_sub_u32_e32 v10, 0x3f1, v9
	v_or_b32_e32 v7, 0x1000, v5
	v_med3_i32 v10, v10, 0, 13
	v_lshrrev_b32_e32 v11, v10, v7
	v_lshlrev_b32_e32 v10, v10, v11
	v_cmp_ne_u32_e32 vcc, v10, v7
	v_cndmask_b32_e64 v7, 0, 1, vcc
	v_add_u32_e32 v9, 0xfffffc10, v9
	v_or_b32_e32 v7, v11, v7
	v_lshl_or_b32 v10, v9, 12, v5
	v_cmp_gt_i32_e32 vcc, 1, v9
	v_cndmask_b32_e32 v7, v10, v7, vcc
	v_and_b32_e32 v10, 7, v7
	v_lshrrev_b32_e32 v11, 16, v8
	v_cmp_lt_i32_e32 vcc, 5, v10
	v_cmp_eq_u32_e64 s[0:1], 3, v10
	v_mul_f16_sdwa v10, v52, v11 dst_sel:DWORD dst_unused:UNUSED_PAD src0_sel:WORD_1 src1_sel:DWORD
	v_fma_f16 v10, v52, v8, v10
	v_lshrrev_b32_e32 v7, 2, v7
	s_or_b64 vcc, s[0:1], vcc
	v_cvt_f32_f16_e32 v10, v10
	v_addc_co_u32_e32 v7, vcc, 0, v7, vcc
	v_cmp_gt_i32_e32 vcc, 31, v9
	v_cndmask_b32_e32 v7, v2, v7, vcc
	v_cmp_ne_u32_e32 vcc, 0, v5
	v_cndmask_b32_e64 v5, 0, 1, vcc
	v_cmp_eq_u32_e32 vcc, s10, v9
	v_cvt_f64_f32_e32 v[9:10], v10
	v_lshl_or_b32 v5, v5, 9, v2
	v_cndmask_b32_e32 v5, v7, v5, vcc
	v_lshrrev_b32_e32 v6, 16, v6
	v_and_or_b32 v7, v6, s11, v5
	v_mul_f64 v[5:6], v[9:10], s[4:5]
	v_and_b32_e32 v1, 0xffff, v1
	v_lshl_or_b32 v1, v7, 16, v1
	v_mov_b32_e32 v7, s2
	v_add_co_u32_e32 v3, vcc, s3, v3
	v_addc_co_u32_e32 v4, vcc, v4, v7, vcc
	global_store_dword v[3:4], v1, off
	v_and_or_b32 v1, v6, s6, v5
	v_cmp_ne_u32_e32 vcc, 0, v1
	v_cndmask_b32_e64 v1, 0, 1, vcc
	v_lshrrev_b32_e32 v5, 8, v6
	v_bfe_u32 v7, v6, 20, 11
	v_and_or_b32 v1, v5, s7, v1
	v_sub_u32_e32 v9, 0x3f1, v7
	v_or_b32_e32 v5, 0x1000, v1
	v_med3_i32 v9, v9, 0, 13
	v_lshrrev_b32_e32 v10, v9, v5
	v_lshlrev_b32_e32 v9, v9, v10
	v_mul_f16_sdwa v8, v52, v8 dst_sel:DWORD dst_unused:UNUSED_PAD src0_sel:WORD_1 src1_sel:DWORD
	v_cmp_ne_u32_e32 vcc, v9, v5
	v_fma_f16 v8, v52, v11, -v8
	v_cndmask_b32_e64 v5, 0, 1, vcc
	v_add_u32_e32 v9, 0xfffffc10, v7
	v_cvt_f32_f16_e32 v8, v8
	v_or_b32_e32 v5, v10, v5
	v_lshl_or_b32 v7, v9, 12, v1
	v_cmp_gt_i32_e32 vcc, 1, v9
	v_cndmask_b32_e32 v5, v7, v5, vcc
	v_and_b32_e32 v7, 7, v5
	v_cmp_lt_i32_e32 vcc, 5, v7
	v_cmp_eq_u32_e64 s[0:1], 3, v7
	v_cvt_f64_f32_e32 v[7:8], v8
	v_lshrrev_b32_e32 v5, 2, v5
	s_or_b64 vcc, s[0:1], vcc
	v_addc_co_u32_e32 v5, vcc, 0, v5, vcc
	v_mul_f64 v[7:8], v[7:8], s[4:5]
	v_cmp_gt_i32_e32 vcc, 31, v9
	v_cndmask_b32_e32 v5, v2, v5, vcc
	v_cmp_ne_u32_e32 vcc, 0, v1
	v_cndmask_b32_e64 v1, 0, 1, vcc
	v_lshl_or_b32 v1, v1, 9, v2
	v_cmp_eq_u32_e32 vcc, s10, v9
	v_cndmask_b32_e32 v1, v5, v1, vcc
	v_lshrrev_b32_e32 v5, 16, v6
	v_and_or_b32 v1, v5, s11, v1
	v_and_or_b32 v5, v8, s6, v7
	v_cmp_ne_u32_e32 vcc, 0, v5
	v_cndmask_b32_e64 v5, 0, 1, vcc
	v_lshrrev_b32_e32 v6, 8, v8
	v_and_or_b32 v7, v6, s7, v5
	v_bfe_u32 v6, v8, 20, 11
	v_sub_u32_e32 v9, 0x3f1, v6
	v_or_b32_e32 v5, 0x1000, v7
	v_med3_i32 v9, v9, 0, 13
	v_lshrrev_b32_e32 v10, v9, v5
	v_lshlrev_b32_e32 v9, v9, v10
	v_cmp_ne_u32_e32 vcc, v9, v5
	v_cndmask_b32_e64 v5, 0, 1, vcc
	v_add_u32_e32 v9, 0xfffffc10, v6
	v_or_b32_e32 v5, v10, v5
	v_lshl_or_b32 v6, v9, 12, v7
	v_cmp_gt_i32_e32 vcc, 1, v9
	v_cndmask_b32_e32 v5, v6, v5, vcc
	v_and_b32_e32 v6, 7, v5
	v_cmp_lt_i32_e32 vcc, 5, v6
	v_cmp_eq_u32_e64 s[0:1], 3, v6
	v_lshrrev_b32_e32 v5, 2, v5
	s_or_b64 vcc, s[0:1], vcc
	v_addc_co_u32_e32 v10, vcc, 0, v5, vcc
	ds_read2_b32 v[5:6], v17 offset0:104 offset1:230
	v_cmp_gt_i32_e32 vcc, 31, v9
	v_cndmask_b32_e32 v10, v2, v10, vcc
	v_cmp_ne_u32_e32 vcc, 0, v7
	v_cndmask_b32_e64 v7, 0, 1, vcc
	s_waitcnt lgkmcnt(0)
	v_lshrrev_b32_e32 v11, 16, v5
	v_mul_f16_sdwa v12, v51, v11 dst_sel:DWORD dst_unused:UNUSED_PAD src0_sel:WORD_1 src1_sel:DWORD
	v_fma_f16 v12, v51, v5, v12
	v_cvt_f32_f16_e32 v12, v12
	v_lshl_or_b32 v7, v7, 9, v2
	v_cmp_eq_u32_e32 vcc, s10, v9
	v_cndmask_b32_e32 v7, v10, v7, vcc
	v_cvt_f64_f32_e32 v[9:10], v12
	v_lshrrev_b32_e32 v8, 16, v8
	v_and_or_b32 v12, v8, s11, v7
	v_and_b32_e32 v1, 0xffff, v1
	v_mul_f64 v[7:8], v[9:10], s[4:5]
	v_mov_b32_e32 v9, s9
	v_add_co_u32_e32 v3, vcc, s8, v3
	v_lshl_or_b32 v1, v12, 16, v1
	v_addc_co_u32_e32 v4, vcc, v4, v9, vcc
	global_store_dword v[3:4], v1, off
	v_and_or_b32 v1, v8, s6, v7
	v_cmp_ne_u32_e32 vcc, 0, v1
	v_cndmask_b32_e64 v1, 0, 1, vcc
	v_lshrrev_b32_e32 v7, 8, v8
	v_bfe_u32 v9, v8, 20, 11
	v_and_or_b32 v1, v7, s7, v1
	v_sub_u32_e32 v10, 0x3f1, v9
	v_or_b32_e32 v7, 0x1000, v1
	v_med3_i32 v10, v10, 0, 13
	v_lshrrev_b32_e32 v12, v10, v7
	v_lshlrev_b32_e32 v10, v10, v12
	v_cmp_ne_u32_e32 vcc, v10, v7
	v_mul_f16_sdwa v5, v51, v5 dst_sel:DWORD dst_unused:UNUSED_PAD src0_sel:WORD_1 src1_sel:DWORD
	v_cndmask_b32_e64 v7, 0, 1, vcc
	v_fma_f16 v5, v51, v11, -v5
	v_or_b32_e32 v7, v12, v7
	v_add_u32_e32 v12, 0xfffffc10, v9
	v_cvt_f32_f16_e32 v5, v5
	v_lshl_or_b32 v9, v12, 12, v1
	v_cmp_gt_i32_e32 vcc, 1, v12
	v_cndmask_b32_e32 v7, v9, v7, vcc
	v_and_b32_e32 v9, 7, v7
	v_cmp_lt_i32_e32 vcc, 5, v9
	v_cmp_eq_u32_e64 s[0:1], 3, v9
	v_cvt_f64_f32_e32 v[9:10], v5
	v_lshrrev_b32_e32 v7, 2, v7
	s_or_b64 vcc, s[0:1], vcc
	v_addc_co_u32_e32 v5, vcc, 0, v7, vcc
	v_mul_f64 v[9:10], v[9:10], s[4:5]
	v_cmp_gt_i32_e32 vcc, 31, v12
	v_cndmask_b32_e32 v5, v2, v5, vcc
	v_cmp_ne_u32_e32 vcc, 0, v1
	v_cndmask_b32_e64 v1, 0, 1, vcc
	v_lshl_or_b32 v1, v1, 9, v2
	v_cmp_eq_u32_e32 vcc, s10, v12
	v_cndmask_b32_e32 v1, v5, v1, vcc
	v_lshrrev_b32_e32 v5, 16, v8
	v_and_or_b32 v1, v5, s11, v1
	v_and_or_b32 v5, v10, s6, v9
	v_cmp_ne_u32_e32 vcc, 0, v5
	v_cndmask_b32_e64 v5, 0, 1, vcc
	v_lshrrev_b32_e32 v7, 8, v10
	v_bfe_u32 v8, v10, 20, 11
	v_and_or_b32 v5, v7, s7, v5
	v_sub_u32_e32 v9, 0x3f1, v8
	v_or_b32_e32 v7, 0x1000, v5
	v_med3_i32 v9, v9, 0, 13
	v_lshrrev_b32_e32 v11, v9, v7
	v_lshlrev_b32_e32 v9, v9, v11
	v_cmp_ne_u32_e32 vcc, v9, v7
	v_cndmask_b32_e64 v7, 0, 1, vcc
	v_add_u32_e32 v8, 0xfffffc10, v8
	v_or_b32_e32 v7, v11, v7
	v_lshl_or_b32 v9, v8, 12, v5
	v_cmp_gt_i32_e32 vcc, 1, v8
	v_cndmask_b32_e32 v7, v9, v7, vcc
	v_and_b32_e32 v9, 7, v7
	v_cmp_lt_i32_e32 vcc, 5, v9
	v_cmp_eq_u32_e64 s[0:1], 3, v9
	v_lshrrev_b32_e32 v9, 16, v0
	v_lshrrev_b32_e32 v7, 2, v7
	s_or_b64 vcc, s[0:1], vcc
	v_mul_f16_sdwa v11, v50, v9 dst_sel:DWORD dst_unused:UNUSED_PAD src0_sel:WORD_1 src1_sel:DWORD
	v_addc_co_u32_e32 v7, vcc, 0, v7, vcc
	v_fma_f16 v11, v50, v0, v11
	v_cmp_gt_i32_e32 vcc, 31, v8
	v_cvt_f32_f16_e32 v11, v11
	v_cndmask_b32_e32 v7, v2, v7, vcc
	v_cmp_ne_u32_e32 vcc, 0, v5
	v_cndmask_b32_e64 v5, 0, 1, vcc
	v_lshl_or_b32 v5, v5, 9, v2
	v_cmp_eq_u32_e32 vcc, s10, v8
	v_cndmask_b32_e32 v5, v7, v5, vcc
	v_cvt_f64_f32_e32 v[7:8], v11
	v_lshrrev_b32_e32 v10, 16, v10
	v_and_or_b32 v5, v10, s11, v5
	v_and_b32_e32 v1, 0xffff, v1
	v_mul_f64 v[7:8], v[7:8], s[4:5]
	v_lshl_or_b32 v1, v5, 16, v1
	v_mov_b32_e32 v5, s2
	v_add_co_u32_e32 v3, vcc, s3, v3
	v_addc_co_u32_e32 v4, vcc, v4, v5, vcc
	global_store_dword v[3:4], v1, off
	v_and_or_b32 v1, v8, s6, v7
	v_cmp_ne_u32_e32 vcc, 0, v1
	v_cndmask_b32_e64 v1, 0, 1, vcc
	v_lshrrev_b32_e32 v5, 8, v8
	v_bfe_u32 v7, v8, 20, 11
	v_and_or_b32 v5, v5, s7, v1
	v_sub_u32_e32 v10, 0x3f1, v7
	v_or_b32_e32 v1, 0x1000, v5
	v_med3_i32 v10, v10, 0, 13
	v_lshrrev_b32_e32 v11, v10, v1
	v_mul_f16_sdwa v0, v50, v0 dst_sel:DWORD dst_unused:UNUSED_PAD src0_sel:WORD_1 src1_sel:DWORD
	v_lshlrev_b32_e32 v10, v10, v11
	v_fma_f16 v0, v50, v9, -v0
	v_cmp_ne_u32_e32 vcc, v10, v1
	v_cvt_f32_f16_e32 v0, v0
	v_cndmask_b32_e64 v1, 0, 1, vcc
	v_add_u32_e32 v7, 0xfffffc10, v7
	v_or_b32_e32 v1, v11, v1
	v_lshl_or_b32 v10, v7, 12, v5
	v_cmp_gt_i32_e32 vcc, 1, v7
	v_cndmask_b32_e32 v1, v10, v1, vcc
	v_and_b32_e32 v10, 7, v1
	v_lshrrev_b32_e32 v9, 2, v1
	v_cvt_f64_f32_e32 v[0:1], v0
	v_cmp_lt_i32_e32 vcc, 5, v10
	v_cmp_eq_u32_e64 s[0:1], 3, v10
	s_or_b64 vcc, s[0:1], vcc
	v_mul_f64 v[0:1], v[0:1], s[4:5]
	v_addc_co_u32_e32 v9, vcc, 0, v9, vcc
	v_cmp_gt_i32_e32 vcc, 31, v7
	v_cndmask_b32_e32 v9, v2, v9, vcc
	v_cmp_ne_u32_e32 vcc, 0, v5
	v_cndmask_b32_e64 v5, 0, 1, vcc
	v_lshl_or_b32 v5, v5, 9, v2
	v_cmp_eq_u32_e32 vcc, s10, v7
	v_and_or_b32 v0, v1, s6, v0
	v_cndmask_b32_e32 v5, v9, v5, vcc
	v_lshrrev_b32_e32 v7, 16, v8
	v_cmp_ne_u32_e32 vcc, 0, v0
	v_and_or_b32 v5, v7, s11, v5
	v_cndmask_b32_e64 v0, 0, 1, vcc
	v_lshrrev_b32_e32 v7, 8, v1
	v_bfe_u32 v8, v1, 20, 11
	v_and_or_b32 v0, v7, s7, v0
	v_sub_u32_e32 v9, 0x3f1, v8
	v_or_b32_e32 v7, 0x1000, v0
	v_med3_i32 v9, v9, 0, 13
	v_lshrrev_b32_e32 v10, v9, v7
	v_lshlrev_b32_e32 v9, v9, v10
	v_cmp_ne_u32_e32 vcc, v9, v7
	v_cndmask_b32_e64 v7, 0, 1, vcc
	v_add_u32_e32 v8, 0xfffffc10, v8
	v_or_b32_e32 v7, v10, v7
	v_lshl_or_b32 v9, v8, 12, v0
	v_cmp_gt_i32_e32 vcc, 1, v8
	v_cndmask_b32_e32 v7, v9, v7, vcc
	v_and_b32_e32 v9, 7, v7
	v_cmp_lt_i32_e32 vcc, 5, v9
	v_cmp_eq_u32_e64 s[0:1], 3, v9
	v_lshrrev_b32_e32 v9, 16, v6
	v_lshrrev_b32_e32 v7, 2, v7
	s_or_b64 vcc, s[0:1], vcc
	v_mul_f16_sdwa v10, v49, v9 dst_sel:DWORD dst_unused:UNUSED_PAD src0_sel:WORD_1 src1_sel:DWORD
	v_addc_co_u32_e32 v7, vcc, 0, v7, vcc
	v_fma_f16 v10, v49, v6, v10
	v_cmp_gt_i32_e32 vcc, 31, v8
	v_cvt_f32_f16_e32 v10, v10
	v_cndmask_b32_e32 v7, v2, v7, vcc
	v_cmp_ne_u32_e32 vcc, 0, v0
	v_cndmask_b32_e64 v0, 0, 1, vcc
	v_lshl_or_b32 v0, v0, 9, v2
	v_cmp_eq_u32_e32 vcc, s10, v8
	v_cndmask_b32_e32 v0, v7, v0, vcc
	v_cvt_f64_f32_e32 v[7:8], v10
	v_lshrrev_b32_e32 v1, 16, v1
	v_and_or_b32 v10, v1, s11, v0
	v_add_co_u32_e32 v3, vcc, s8, v3
	v_mul_f64 v[0:1], v[7:8], s[4:5]
	v_mov_b32_e32 v7, s9
	v_and_b32_e32 v5, 0xffff, v5
	v_addc_co_u32_e32 v4, vcc, v4, v7, vcc
	v_lshl_or_b32 v5, v10, 16, v5
	global_store_dword v[3:4], v5, off
	v_mul_f16_sdwa v6, v49, v6 dst_sel:DWORD dst_unused:UNUSED_PAD src0_sel:WORD_1 src1_sel:DWORD
	v_and_or_b32 v0, v1, s6, v0
	v_cmp_ne_u32_e32 vcc, 0, v0
	v_cndmask_b32_e64 v0, 0, 1, vcc
	v_lshrrev_b32_e32 v5, 8, v1
	v_bfe_u32 v7, v1, 20, 11
	v_and_or_b32 v0, v5, s7, v0
	v_sub_u32_e32 v8, 0x3f1, v7
	v_or_b32_e32 v5, 0x1000, v0
	v_med3_i32 v8, v8, 0, 13
	v_lshrrev_b32_e32 v10, v8, v5
	v_lshlrev_b32_e32 v8, v8, v10
	v_cmp_ne_u32_e32 vcc, v8, v5
	v_fma_f16 v6, v49, v9, -v6
	v_cndmask_b32_e64 v5, 0, 1, vcc
	v_add_u32_e32 v7, 0xfffffc10, v7
	v_cvt_f32_f16_e32 v6, v6
	v_or_b32_e32 v5, v10, v5
	v_lshl_or_b32 v8, v7, 12, v0
	v_cmp_gt_i32_e32 vcc, 1, v7
	v_cndmask_b32_e32 v5, v8, v5, vcc
	v_and_b32_e32 v8, 7, v5
	v_cmp_lt_i32_e32 vcc, 5, v8
	v_cmp_eq_u32_e64 s[0:1], 3, v8
	v_lshrrev_b32_e32 v8, 2, v5
	v_cvt_f64_f32_e32 v[5:6], v6
	s_or_b64 vcc, s[0:1], vcc
	v_addc_co_u32_e32 v8, vcc, 0, v8, vcc
	v_mul_f64 v[5:6], v[5:6], s[4:5]
	v_cmp_gt_i32_e32 vcc, 31, v7
	v_cndmask_b32_e32 v8, v2, v8, vcc
	v_cmp_ne_u32_e32 vcc, 0, v0
	v_cndmask_b32_e64 v0, 0, 1, vcc
	v_lshl_or_b32 v0, v0, 9, v2
	v_cmp_eq_u32_e32 vcc, s10, v7
	v_cndmask_b32_e32 v0, v8, v0, vcc
	v_lshrrev_b32_e32 v1, 16, v1
	v_and_or_b32 v0, v1, s11, v0
	v_and_or_b32 v1, v6, s6, v5
	v_cmp_ne_u32_e32 vcc, 0, v1
	v_cndmask_b32_e64 v1, 0, 1, vcc
	v_lshrrev_b32_e32 v5, 8, v6
	v_bfe_u32 v7, v6, 20, 11
	v_and_or_b32 v1, v5, s7, v1
	v_sub_u32_e32 v8, 0x3f1, v7
	v_or_b32_e32 v5, 0x1000, v1
	v_med3_i32 v8, v8, 0, 13
	v_lshrrev_b32_e32 v9, v8, v5
	v_lshlrev_b32_e32 v8, v8, v9
	v_cmp_ne_u32_e32 vcc, v8, v5
	v_cndmask_b32_e64 v5, 0, 1, vcc
	v_add_u32_e32 v7, 0xfffffc10, v7
	v_or_b32_e32 v5, v9, v5
	v_lshl_or_b32 v8, v7, 12, v1
	v_cmp_gt_i32_e32 vcc, 1, v7
	v_cndmask_b32_e32 v5, v8, v5, vcc
	v_and_b32_e32 v8, 7, v5
	v_cmp_lt_i32_e32 vcc, 5, v8
	v_cmp_eq_u32_e64 s[0:1], 3, v8
	v_lshrrev_b32_e32 v5, 2, v5
	s_or_b64 vcc, s[0:1], vcc
	v_addc_co_u32_e32 v5, vcc, 0, v5, vcc
	v_cmp_gt_i32_e32 vcc, 31, v7
	v_cndmask_b32_e32 v5, v2, v5, vcc
	v_cmp_ne_u32_e32 vcc, 0, v1
	v_cndmask_b32_e64 v1, 0, 1, vcc
	v_lshl_or_b32 v1, v1, 9, v2
	v_cmp_eq_u32_e32 vcc, s10, v7
	v_cndmask_b32_e32 v1, v5, v1, vcc
	v_lshrrev_b32_e32 v2, 16, v6
	v_and_or_b32 v1, v2, s11, v1
	v_and_b32_e32 v0, 0xffff, v0
	v_lshl_or_b32 v2, v1, 16, v0
	v_mov_b32_e32 v1, s2
	v_add_co_u32_e32 v0, vcc, s3, v3
	v_addc_co_u32_e32 v1, vcc, v4, v1, vcc
	global_store_dword v[0:1], v2, off
.LBB0_18:
	s_endpgm
	.section	.rodata,"a",@progbits
	.p2align	6, 0x0
	.amdhsa_kernel bluestein_single_fwd_len1764_dim1_half_op_CI_CI
		.amdhsa_group_segment_fixed_size 7056
		.amdhsa_private_segment_fixed_size 0
		.amdhsa_kernarg_size 104
		.amdhsa_user_sgpr_count 6
		.amdhsa_user_sgpr_private_segment_buffer 1
		.amdhsa_user_sgpr_dispatch_ptr 0
		.amdhsa_user_sgpr_queue_ptr 0
		.amdhsa_user_sgpr_kernarg_segment_ptr 1
		.amdhsa_user_sgpr_dispatch_id 0
		.amdhsa_user_sgpr_flat_scratch_init 0
		.amdhsa_user_sgpr_private_segment_size 0
		.amdhsa_uses_dynamic_stack 0
		.amdhsa_system_sgpr_private_segment_wavefront_offset 0
		.amdhsa_system_sgpr_workgroup_id_x 1
		.amdhsa_system_sgpr_workgroup_id_y 0
		.amdhsa_system_sgpr_workgroup_id_z 0
		.amdhsa_system_sgpr_workgroup_info 0
		.amdhsa_system_vgpr_workitem_id 0
		.amdhsa_next_free_vgpr 134
		.amdhsa_next_free_sgpr 20
		.amdhsa_reserve_vcc 1
		.amdhsa_reserve_flat_scratch 0
		.amdhsa_float_round_mode_32 0
		.amdhsa_float_round_mode_16_64 0
		.amdhsa_float_denorm_mode_32 3
		.amdhsa_float_denorm_mode_16_64 3
		.amdhsa_dx10_clamp 1
		.amdhsa_ieee_mode 1
		.amdhsa_fp16_overflow 0
		.amdhsa_exception_fp_ieee_invalid_op 0
		.amdhsa_exception_fp_denorm_src 0
		.amdhsa_exception_fp_ieee_div_zero 0
		.amdhsa_exception_fp_ieee_overflow 0
		.amdhsa_exception_fp_ieee_underflow 0
		.amdhsa_exception_fp_ieee_inexact 0
		.amdhsa_exception_int_div_zero 0
	.end_amdhsa_kernel
	.text
.Lfunc_end0:
	.size	bluestein_single_fwd_len1764_dim1_half_op_CI_CI, .Lfunc_end0-bluestein_single_fwd_len1764_dim1_half_op_CI_CI
                                        ; -- End function
	.section	.AMDGPU.csdata,"",@progbits
; Kernel info:
; codeLenInByte = 23468
; NumSgprs: 24
; NumVgprs: 134
; ScratchSize: 0
; MemoryBound: 0
; FloatMode: 240
; IeeeMode: 1
; LDSByteSize: 7056 bytes/workgroup (compile time only)
; SGPRBlocks: 2
; VGPRBlocks: 33
; NumSGPRsForWavesPerEU: 24
; NumVGPRsForWavesPerEU: 134
; Occupancy: 1
; WaveLimiterHint : 1
; COMPUTE_PGM_RSRC2:SCRATCH_EN: 0
; COMPUTE_PGM_RSRC2:USER_SGPR: 6
; COMPUTE_PGM_RSRC2:TRAP_HANDLER: 0
; COMPUTE_PGM_RSRC2:TGID_X_EN: 1
; COMPUTE_PGM_RSRC2:TGID_Y_EN: 0
; COMPUTE_PGM_RSRC2:TGID_Z_EN: 0
; COMPUTE_PGM_RSRC2:TIDIG_COMP_CNT: 0
	.type	__hip_cuid_dc07ed8e881f2e5c,@object ; @__hip_cuid_dc07ed8e881f2e5c
	.section	.bss,"aw",@nobits
	.globl	__hip_cuid_dc07ed8e881f2e5c
__hip_cuid_dc07ed8e881f2e5c:
	.byte	0                               ; 0x0
	.size	__hip_cuid_dc07ed8e881f2e5c, 1

	.ident	"AMD clang version 19.0.0git (https://github.com/RadeonOpenCompute/llvm-project roc-6.4.0 25133 c7fe45cf4b819c5991fe208aaa96edf142730f1d)"
	.section	".note.GNU-stack","",@progbits
	.addrsig
	.addrsig_sym __hip_cuid_dc07ed8e881f2e5c
	.amdgpu_metadata
---
amdhsa.kernels:
  - .args:
      - .actual_access:  read_only
        .address_space:  global
        .offset:         0
        .size:           8
        .value_kind:     global_buffer
      - .actual_access:  read_only
        .address_space:  global
        .offset:         8
        .size:           8
        .value_kind:     global_buffer
      - .actual_access:  read_only
        .address_space:  global
        .offset:         16
        .size:           8
        .value_kind:     global_buffer
      - .actual_access:  read_only
        .address_space:  global
        .offset:         24
        .size:           8
        .value_kind:     global_buffer
      - .actual_access:  read_only
        .address_space:  global
        .offset:         32
        .size:           8
        .value_kind:     global_buffer
      - .offset:         40
        .size:           8
        .value_kind:     by_value
      - .address_space:  global
        .offset:         48
        .size:           8
        .value_kind:     global_buffer
      - .address_space:  global
        .offset:         56
        .size:           8
        .value_kind:     global_buffer
      - .address_space:  global
        .offset:         64
        .size:           8
        .value_kind:     global_buffer
      - .address_space:  global
        .offset:         72
        .size:           8
        .value_kind:     global_buffer
      - .offset:         80
        .size:           4
        .value_kind:     by_value
      - .address_space:  global
        .offset:         88
        .size:           8
        .value_kind:     global_buffer
      - .address_space:  global
        .offset:         96
        .size:           8
        .value_kind:     global_buffer
    .group_segment_fixed_size: 7056
    .kernarg_segment_align: 8
    .kernarg_segment_size: 104
    .language:       OpenCL C
    .language_version:
      - 2
      - 0
    .max_flat_workgroup_size: 126
    .name:           bluestein_single_fwd_len1764_dim1_half_op_CI_CI
    .private_segment_fixed_size: 0
    .sgpr_count:     24
    .sgpr_spill_count: 0
    .symbol:         bluestein_single_fwd_len1764_dim1_half_op_CI_CI.kd
    .uniform_work_group_size: 1
    .uses_dynamic_stack: false
    .vgpr_count:     134
    .vgpr_spill_count: 0
    .wavefront_size: 64
amdhsa.target:   amdgcn-amd-amdhsa--gfx906
amdhsa.version:
  - 1
  - 2
...

	.end_amdgpu_metadata
